;; amdgpu-corpus repo=tuanlda78202/gpt-oss-amd kind=compiled arch=gfx950 opt=O3
	.amdgcn_target "amdgcn-amd-amdhsa--gfx950"
	.amdhsa_code_object_version 6
	.text
	.protected	_Z19embed_kernel_scalarPK14__hip_bfloat16PKiPfii ; -- Begin function _Z19embed_kernel_scalarPK14__hip_bfloat16PKiPfii
	.globl	_Z19embed_kernel_scalarPK14__hip_bfloat16PKiPfii
	.p2align	8
	.type	_Z19embed_kernel_scalarPK14__hip_bfloat16PKiPfii,@function
_Z19embed_kernel_scalarPK14__hip_bfloat16PKiPfii: ; @_Z19embed_kernel_scalarPK14__hip_bfloat16PKiPfii
; %bb.0:
	s_mov_b32 s4, s3
	s_load_dword s3, s[0:1], 0x2c
	s_load_dwordx2 s[6:7], s[0:1], 0x18
	s_waitcnt lgkmcnt(0)
	s_and_b32 s3, s3, 0xffff
	s_mul_i32 s2, s2, s3
	v_add_u32_e32 v1, s2, v0
	s_cmp_lt_i32 s4, s6
	s_cselect_b64 s[2:3], -1, 0
	v_cmp_gt_i32_e32 vcc, s7, v1
	s_and_b64 s[2:3], s[2:3], vcc
	s_and_saveexec_b64 s[8:9], s[2:3]
	s_cbranch_execz .LBB0_4
; %bb.1:
	s_load_dwordx2 s[8:9], s[0:1], 0x0
	s_load_dwordx2 s[2:3], s[0:1], 0x10
	v_cmp_eq_u32_e32 vcc, 0, v0
	s_and_saveexec_b64 s[10:11], vcc
	s_cbranch_execz .LBB0_3
; %bb.2:
	s_load_dwordx2 s[0:1], s[0:1], 0x8
	s_ashr_i32 s5, s4, 31
	s_lshl_b64 s[12:13], s[4:5], 2
	v_mov_b32_e32 v0, 0
	s_waitcnt lgkmcnt(0)
	s_add_u32 s0, s0, s12
	s_addc_u32 s1, s1, s13
	s_load_dword s0, s[0:1], 0x0
	s_waitcnt lgkmcnt(0)
	v_mov_b32_e32 v2, s0
	ds_write_b32 v0, v2
.LBB0_3:
	s_or_b64 exec, exec, s[10:11]
	v_mov_b32_e32 v0, 0
	s_waitcnt lgkmcnt(0)
	s_barrier
	ds_read_b32 v0, v0
	s_mul_i32 s0, s7, s4
	s_waitcnt lgkmcnt(0)
	v_mul_lo_u32 v0, v0, s7
	v_add_u32_e32 v2, v0, v1
	v_ashrrev_i32_e32 v3, 31, v2
	v_lshl_add_u64 v[2:3], v[2:3], 1, s[8:9]
	global_load_ushort v2, v[2:3], off
	v_add_u32_e32 v0, s0, v1
	v_ashrrev_i32_e32 v1, 31, v0
	v_lshl_add_u64 v[0:1], v[0:1], 2, s[2:3]
	s_waitcnt vmcnt(0)
	v_lshlrev_b32_e32 v2, 16, v2
	global_store_dword v[0:1], v2, off
.LBB0_4:
	s_endpgm
	.section	.rodata,"a",@progbits
	.p2align	6, 0x0
	.amdhsa_kernel _Z19embed_kernel_scalarPK14__hip_bfloat16PKiPfii
		.amdhsa_group_segment_fixed_size 4
		.amdhsa_private_segment_fixed_size 0
		.amdhsa_kernarg_size 288
		.amdhsa_user_sgpr_count 2
		.amdhsa_user_sgpr_dispatch_ptr 0
		.amdhsa_user_sgpr_queue_ptr 0
		.amdhsa_user_sgpr_kernarg_segment_ptr 1
		.amdhsa_user_sgpr_dispatch_id 0
		.amdhsa_user_sgpr_kernarg_preload_length 0
		.amdhsa_user_sgpr_kernarg_preload_offset 0
		.amdhsa_user_sgpr_private_segment_size 0
		.amdhsa_uses_dynamic_stack 0
		.amdhsa_enable_private_segment 0
		.amdhsa_system_sgpr_workgroup_id_x 1
		.amdhsa_system_sgpr_workgroup_id_y 1
		.amdhsa_system_sgpr_workgroup_id_z 0
		.amdhsa_system_sgpr_workgroup_info 0
		.amdhsa_system_vgpr_workitem_id 0
		.amdhsa_next_free_vgpr 4
		.amdhsa_next_free_sgpr 14
		.amdhsa_accum_offset 4
		.amdhsa_reserve_vcc 1
		.amdhsa_float_round_mode_32 0
		.amdhsa_float_round_mode_16_64 0
		.amdhsa_float_denorm_mode_32 3
		.amdhsa_float_denorm_mode_16_64 3
		.amdhsa_dx10_clamp 1
		.amdhsa_ieee_mode 1
		.amdhsa_fp16_overflow 0
		.amdhsa_tg_split 0
		.amdhsa_exception_fp_ieee_invalid_op 0
		.amdhsa_exception_fp_denorm_src 0
		.amdhsa_exception_fp_ieee_div_zero 0
		.amdhsa_exception_fp_ieee_overflow 0
		.amdhsa_exception_fp_ieee_underflow 0
		.amdhsa_exception_fp_ieee_inexact 0
		.amdhsa_exception_int_div_zero 0
	.end_amdhsa_kernel
	.text
.Lfunc_end0:
	.size	_Z19embed_kernel_scalarPK14__hip_bfloat16PKiPfii, .Lfunc_end0-_Z19embed_kernel_scalarPK14__hip_bfloat16PKiPfii
                                        ; -- End function
	.set _Z19embed_kernel_scalarPK14__hip_bfloat16PKiPfii.num_vgpr, 4
	.set _Z19embed_kernel_scalarPK14__hip_bfloat16PKiPfii.num_agpr, 0
	.set _Z19embed_kernel_scalarPK14__hip_bfloat16PKiPfii.numbered_sgpr, 14
	.set _Z19embed_kernel_scalarPK14__hip_bfloat16PKiPfii.num_named_barrier, 0
	.set _Z19embed_kernel_scalarPK14__hip_bfloat16PKiPfii.private_seg_size, 0
	.set _Z19embed_kernel_scalarPK14__hip_bfloat16PKiPfii.uses_vcc, 1
	.set _Z19embed_kernel_scalarPK14__hip_bfloat16PKiPfii.uses_flat_scratch, 0
	.set _Z19embed_kernel_scalarPK14__hip_bfloat16PKiPfii.has_dyn_sized_stack, 0
	.set _Z19embed_kernel_scalarPK14__hip_bfloat16PKiPfii.has_recursion, 0
	.set _Z19embed_kernel_scalarPK14__hip_bfloat16PKiPfii.has_indirect_call, 0
	.section	.AMDGPU.csdata,"",@progbits
; Kernel info:
; codeLenInByte = 248
; TotalNumSgprs: 20
; NumVgprs: 4
; NumAgprs: 0
; TotalNumVgprs: 4
; ScratchSize: 0
; MemoryBound: 0
; FloatMode: 240
; IeeeMode: 1
; LDSByteSize: 4 bytes/workgroup (compile time only)
; SGPRBlocks: 2
; VGPRBlocks: 0
; NumSGPRsForWavesPerEU: 20
; NumVGPRsForWavesPerEU: 4
; AccumOffset: 4
; Occupancy: 8
; WaveLimiterHint : 0
; COMPUTE_PGM_RSRC2:SCRATCH_EN: 0
; COMPUTE_PGM_RSRC2:USER_SGPR: 2
; COMPUTE_PGM_RSRC2:TRAP_HANDLER: 0
; COMPUTE_PGM_RSRC2:TGID_X_EN: 1
; COMPUTE_PGM_RSRC2:TGID_Y_EN: 1
; COMPUTE_PGM_RSRC2:TGID_Z_EN: 0
; COMPUTE_PGM_RSRC2:TIDIG_COMP_CNT: 0
; COMPUTE_PGM_RSRC3_GFX90A:ACCUM_OFFSET: 0
; COMPUTE_PGM_RSRC3_GFX90A:TG_SPLIT: 0
	.text
	.protected	_Z25gemm_bf16_f32_mfma_logitsPK14__hip_bfloat16PKfPfiii ; -- Begin function _Z25gemm_bf16_f32_mfma_logitsPK14__hip_bfloat16PKfPfiii
	.globl	_Z25gemm_bf16_f32_mfma_logitsPK14__hip_bfloat16PKfPfiii
	.p2align	8
	.type	_Z25gemm_bf16_f32_mfma_logitsPK14__hip_bfloat16PKfPfiii,@function
_Z25gemm_bf16_f32_mfma_logitsPK14__hip_bfloat16PKfPfiii: ; @_Z25gemm_bf16_f32_mfma_logitsPK14__hip_bfloat16PKfPfiii
; %bb.0:
	s_load_dwordx2 s[6:7], s[0:1], 0x8
	s_load_dwordx4 s[8:11], s[0:1], 0x18
	v_lshrrev_b32_e32 v4, 4, v0
	s_waitcnt lgkmcnt(0)
	s_lshl_b32 s11, s2, 6
	v_lshlrev_b32_e32 v1, 2, v0
	v_and_b32_e32 v1, 60, v1
	v_or_b32_e32 v18, s11, v4
	v_cmp_gt_i32_e64 s[4:5], s9, v18
	v_cmp_gt_i32_e32 vcc, s10, v1
	v_mov_b32_e32 v2, 0
	s_and_b64 s[14:15], s[4:5], vcc
	v_ashrrev_i32_e32 v19, 31, v18
	v_mov_b32_e32 v3, v2
	s_and_saveexec_b64 s[12:13], s[14:15]
	s_cbranch_execz .LBB1_2
; %bb.1:
	v_mad_u64_u32 v[2:3], s[14:15], s10, v18, 0
	v_mov_b32_e32 v6, v3
	v_mad_u64_u32 v[6:7], s[14:15], s10, v19, v[6:7]
	v_mov_b32_e32 v3, v6
	v_lshl_add_u64 v[2:3], v[2:3], 2, s[6:7]
	v_lshlrev_b32_e32 v6, 2, v1
	v_mov_b32_e32 v7, 0
	v_lshl_add_u64 v[2:3], v[2:3], 0, v[6:7]
	global_load_dwordx4 v[6:9], v[2:3], off
	s_mov_b32 s2, 0x5040100
	s_waitcnt vmcnt(0)
	v_cvt_pk_bf16_f32 v2, v6, s0
	v_cvt_pk_bf16_f32 v3, v7, v8
	;; [unrolled: 1-line block ×3, first 2 shown]
	v_perm_b32 v2, v3, v2, s2
	v_alignbit_b32 v3, v5, v3, 16
.LBB1_2:
	s_or_b64 exec, exec, s[12:13]
	v_and_b32_e32 v20, 3, v4
	v_lshlrev_b32_e32 v6, 1, v1
	s_movk_i32 s2, 0x88
	v_lshrrev_b32_e32 v5, 2, v0
	v_mad_u32_u24 v41, v4, s2, v6
	s_cmp_gt_i32 s10, 0
	v_lshlrev_b32_e32 v40, 2, v20
	ds_write_b64 v41, v[2:3]
	s_waitcnt lgkmcnt(0)
	s_barrier
	s_cbranch_scc1 .LBB1_4
; %bb.3:
	v_lshlrev_b32_e32 v21, 2, v20
	s_mov_b64 s[14:15], 0
	s_branch .LBB1_5
.LBB1_4:
	s_mov_b64 s[14:15], -1
                                        ; implicit-def: $vgpr21
.LBB1_5:
	s_load_dwordx2 s[12:13], s[0:1], 0x10
	v_mov_b32_e32 v9, 0
	v_and_b32_e32 v38, 15, v0
	s_lshl_b32 s20, s3, 8
	v_and_b32_e32 v39, 0xf0, v5
	s_andn2_b64 vcc, exec, s[14:15]
	v_mov_b32_e32 v8, v9
	v_mov_b32_e32 v7, v9
	;; [unrolled: 1-line block ×15, first 2 shown]
	s_cbranch_vccnz .LBB1_61
; %bb.6:
	s_add_i32 s2, s10, 63
	s_ashr_i32 s3, s2, 31
	s_lshr_b32 s3, s3, 26
	s_add_i32 s2, s2, s3
	s_ashr_i32 s21, s2, 6
	v_or3_b32 v2, v39, s20, v38
	v_cmp_gt_i32_e32 vcc, s8, v2
	s_max_i32 s2, s21, 1
	v_lshlrev_b32_e32 v2, 3, v20
	s_movk_i32 s3, 0x88
	v_mad_u32_u24 v42, v38, s3, v2
	s_lshl_b32 s23, s2, 6
	v_mad_u64_u32 v[2:3], s[2:3], v18, s10, 0
	v_mov_b32_e32 v4, v3
	v_mad_u64_u32 v[4:5], s[2:3], v19, s10, v[4:5]
	v_mov_b32_e32 v3, v4
	v_lshlrev_b32_e32 v6, 4, v38
	v_mov_b32_e32 v7, 0
	v_lshl_add_u64 v[2:3], v[2:3], 2, v[6:7]
	v_lshl_add_u64 v[2:3], s[6:7], 0, v[2:3]
	s_mov_b64 s[2:3], 0x100
	v_lshl_add_u64 v[28:29], v[2:3], 0, s[2:3]
	v_add3_u32 v2, s20, v39, v38
	s_load_dwordx2 s[0:1], s[0:1], 0x0
	v_ashrrev_i32_e32 v5, 31, v2
	v_mad_u64_u32 v[2:3], s[6:7], v2, s10, 0
	v_mov_b32_e32 v4, v3
	v_mad_u64_u32 v[4:5], s[6:7], v5, s10, v[4:5]
	v_lshrrev_b32_e32 v0, 1, v0
	v_mov_b32_e32 v3, v4
	v_and_b32_e32 v6, 24, v0
	v_lshl_add_u64 v[2:3], v[2:3], 1, v[6:7]
	s_waitcnt lgkmcnt(0)
	v_lshl_add_u64 v[2:3], s[0:1], 0, v[2:3]
	s_mov_b64 s[0:1], 0x64
	s_mov_b32 s22, 1
	v_lshl_add_u64 v[30:31], v[2:3], 0, s[0:1]
	v_or_b32_e32 v43, 64, v1
	s_mov_b32 s24, 0
	s_mov_b32 s25, 0x5040100
	;; [unrolled: 1-line block ×3, first 2 shown]
	s_mov_b64 s[6:7], 0x80
	v_mov_b32_e32 v6, v7
	v_mov_b32_e32 v8, v7
	;; [unrolled: 1-line block ×15, first 2 shown]
	s_branch .LBB1_9
.LBB1_7:                                ;   in Loop: Header=BB1_9 Depth=1
	s_or_b64 exec, exec, s[0:1]
.LBB1_8:                                ;   in Loop: Header=BB1_9 Depth=1
	s_or_b64 exec, exec, s[14:15]
	ds_read2_b64 v[16:19], v45 offset0:8 offset1:12
	v_add_u32_e32 v20, 0x800, v45
	ds_read2_b64 v[20:23], v20 offset0:24 offset1:28
	s_add_i32 s24, s24, 64
	s_add_i32 s22, s22, 1
	s_waitcnt vmcnt(0) lgkmcnt(1)
	v_mfma_f32_16x16x16_bf16 v[12:15], v[36:37], v[16:17], v[12:15]
	v_add_u32_e32 v16, 0x1000, v45
	ds_read2_b64 v[46:49], v16 offset0:40 offset1:44
	v_lshl_add_u64 v[28:29], v[28:29], 0, s[2:3]
	s_waitcnt lgkmcnt(1)
	v_mfma_f32_16x16x16_bf16 v[24:27], v[36:37], v[20:21], v[4:7]
	v_lshl_add_u64 v[30:31], v[30:31], 0, s[6:7]
	s_cmp_eq_u32 s23, s24
	s_nop 0
	v_add_u32_e32 v4, 0x1800, v45
	s_waitcnt lgkmcnt(0)
	v_mfma_f32_16x16x16_bf16 v[0:3], v[36:37], v[46:47], v[0:3]
	ds_read2_b64 v[44:47], v4 offset0:56 offset1:60
	s_waitcnt lgkmcnt(0)
	s_barrier
	v_mfma_f32_16x16x16_bf16 v[50:53], v[36:37], v[44:45], v[8:11]
	v_mfma_f32_16x16x16_bf16 v[6:9], v[34:35], v[18:19], v[12:15]
	;; [unrolled: 1-line block ×5, first 2 shown]
	s_cbranch_scc1 .LBB1_60
.LBB1_9:                                ; =>This Inner Loop Header: Depth=1
	s_add_i32 s0, s22, -1
	s_and_b32 s27, s0, 1
	s_cmp_ge_i32 s22, s21
	s_cbranch_scc1 .LBB1_13
; %bb.10:                               ;   in Loop: Header=BB1_9 Depth=1
	v_add_u32_e32 v0, s24, v43
	v_cmp_gt_i32_e64 s[0:1], s10, v0
	s_and_b64 s[14:15], s[4:5], s[0:1]
	v_mov_b32_e32 v0, 0
	v_mov_b32_e32 v1, 0
	s_and_saveexec_b64 s[0:1], s[14:15]
	s_cbranch_execz .LBB1_12
; %bb.11:                               ;   in Loop: Header=BB1_9 Depth=1
	global_load_dwordx4 v[18:21], v[28:29], off
	s_waitcnt vmcnt(0)
	v_cvt_pk_bf16_f32 v0, v18, s0
	v_cvt_pk_bf16_f32 v1, v19, v20
	;; [unrolled: 1-line block ×3, first 2 shown]
	v_perm_b32 v0, v1, v0, s25
	v_alignbit_b32 v1, v18, v1, 16
.LBB1_12:                               ;   in Loop: Header=BB1_9 Depth=1
	s_or_b64 exec, exec, s[0:1]
	s_xor_b32 s0, s27, 1
	s_mulk_i32 s0, 0x2200
	v_add_u32_e32 v18, s0, v41
	ds_write_b64 v18, v[0:1]
.LBB1_13:                               ;   in Loop: Header=BB1_9 Depth=1
	v_add_u32_e32 v44, s24, v40
	v_mov_b32_e32 v32, 0
	v_mov_b32_e32 v0, 0
	;; [unrolled: 1-line block ×3, first 2 shown]
	s_and_saveexec_b64 s[14:15], vcc
	s_cbranch_execz .LBB1_25
; %bb.14:                               ;   in Loop: Header=BB1_9 Depth=1
	v_add_u32_e32 v0, 3, v44
	v_cmp_le_i32_e64 s[0:1], s10, v0
                                        ; implicit-def: $vgpr1
	s_and_saveexec_b64 s[16:17], s[0:1]
	s_xor_b64 s[16:17], exec, s[16:17]
	s_cbranch_execz .LBB1_22
; %bb.15:                               ;   in Loop: Header=BB1_9 Depth=1
	v_cmp_gt_i32_e64 s[0:1], s10, v44
	v_mov_b32_e32 v1, 0
	v_mov_b32_e32 v0, 0
	s_and_saveexec_b64 s[18:19], s[0:1]
	s_cbranch_execz .LBB1_17
; %bb.16:                               ;   in Loop: Header=BB1_9 Depth=1
	global_load_ushort v0, v[30:31], off offset:-100
	s_waitcnt vmcnt(0)
	v_and_b32_e32 v0, 0xffff, v0
.LBB1_17:                               ;   in Loop: Header=BB1_9 Depth=1
	s_or_b64 exec, exec, s[18:19]
	v_add_u32_e32 v18, 1, v44
	v_cmp_gt_i32_e64 s[0:1], s10, v18
	s_and_saveexec_b64 s[18:19], s[0:1]
	s_cbranch_execz .LBB1_19
; %bb.18:                               ;   in Loop: Header=BB1_9 Depth=1
	global_load_ushort v18, v[30:31], off offset:-98
	s_waitcnt vmcnt(0)
	v_perm_b32 v0, v18, v0, s25
.LBB1_19:                               ;   in Loop: Header=BB1_9 Depth=1
	s_or_b64 exec, exec, s[18:19]
	v_add_u32_e32 v18, 2, v44
	v_cmp_gt_i32_e64 s[0:1], s10, v18
	s_and_saveexec_b64 s[18:19], s[0:1]
	s_cbranch_execz .LBB1_21
; %bb.20:                               ;   in Loop: Header=BB1_9 Depth=1
	global_load_ushort v18, v[30:31], off offset:-96
	s_waitcnt vmcnt(0)
	v_bfi_b32 v1, s26, v18, v1
.LBB1_21:                               ;   in Loop: Header=BB1_9 Depth=1
	s_or_b64 exec, exec, s[18:19]
.LBB1_22:                               ;   in Loop: Header=BB1_9 Depth=1
	s_andn2_saveexec_b64 s[0:1], s[16:17]
	s_cbranch_execz .LBB1_24
; %bb.23:                               ;   in Loop: Header=BB1_9 Depth=1
	global_load_dwordx2 v[0:1], v[30:31], off offset:-100
.LBB1_24:                               ;   in Loop: Header=BB1_9 Depth=1
	s_or_b64 exec, exec, s[0:1]
.LBB1_25:                               ;   in Loop: Header=BB1_9 Depth=1
	s_or_b64 exec, exec, s[14:15]
	v_mov_b32_e32 v33, 0
	s_and_saveexec_b64 s[14:15], vcc
	s_cbranch_execz .LBB1_37
; %bb.26:                               ;   in Loop: Header=BB1_9 Depth=1
	v_add_u32_e32 v18, 19, v44
	v_cmp_le_i32_e64 s[0:1], s10, v18
                                        ; implicit-def: $vgpr33
	s_and_saveexec_b64 s[16:17], s[0:1]
	s_xor_b64 s[16:17], exec, s[16:17]
	s_cbranch_execz .LBB1_34
; %bb.27:                               ;   in Loop: Header=BB1_9 Depth=1
	v_add_u32_e32 v18, 16, v44
	v_cmp_gt_i32_e64 s[0:1], s10, v18
	v_mov_b32_e32 v33, 0
	v_mov_b32_e32 v32, 0
	s_and_saveexec_b64 s[18:19], s[0:1]
	s_cbranch_execz .LBB1_29
; %bb.28:                               ;   in Loop: Header=BB1_9 Depth=1
	global_load_ushort v18, v[30:31], off offset:-68
	s_waitcnt vmcnt(0)
	v_and_b32_e32 v32, 0xffff, v18
.LBB1_29:                               ;   in Loop: Header=BB1_9 Depth=1
	s_or_b64 exec, exec, s[18:19]
	v_add_u32_e32 v18, 17, v44
	v_cmp_gt_i32_e64 s[0:1], s10, v18
	s_and_saveexec_b64 s[18:19], s[0:1]
	s_cbranch_execz .LBB1_31
; %bb.30:                               ;   in Loop: Header=BB1_9 Depth=1
	global_load_ushort v18, v[30:31], off offset:-66
	s_waitcnt vmcnt(0)
	v_perm_b32 v32, v18, v32, s25
.LBB1_31:                               ;   in Loop: Header=BB1_9 Depth=1
	s_or_b64 exec, exec, s[18:19]
	v_add_u32_e32 v18, 18, v44
	v_cmp_gt_i32_e64 s[0:1], s10, v18
	s_and_saveexec_b64 s[18:19], s[0:1]
	s_cbranch_execz .LBB1_33
; %bb.32:                               ;   in Loop: Header=BB1_9 Depth=1
	global_load_ushort v18, v[30:31], off offset:-64
	s_waitcnt vmcnt(0)
	v_bfi_b32 v33, s26, v18, v33
.LBB1_33:                               ;   in Loop: Header=BB1_9 Depth=1
	s_or_b64 exec, exec, s[18:19]
.LBB1_34:                               ;   in Loop: Header=BB1_9 Depth=1
	s_andn2_saveexec_b64 s[0:1], s[16:17]
	s_cbranch_execz .LBB1_36
; %bb.35:                               ;   in Loop: Header=BB1_9 Depth=1
	global_load_dwordx2 v[32:33], v[30:31], off offset:-68
.LBB1_36:                               ;   in Loop: Header=BB1_9 Depth=1
	s_or_b64 exec, exec, s[0:1]
.LBB1_37:                               ;   in Loop: Header=BB1_9 Depth=1
	s_or_b64 exec, exec, s[14:15]
	s_mulk_i32 s27, 0x2200
	v_add_u32_e32 v45, s27, v42
	ds_read_b64 v[18:19], v45
	ds_read_b64 v[20:21], v45 offset:2176
	ds_read_b64 v[22:23], v45 offset:4352
	;; [unrolled: 1-line block ×3, first 2 shown]
	v_mov_b32_e32 v34, 0
	s_waitcnt vmcnt(0) lgkmcnt(3)
	v_mfma_f32_16x16x16_bf16 v[6:9], v[0:1], v[18:19], v[6:9]
	v_mov_b32_e32 v36, 0
	v_mov_b32_e32 v37, 0
	s_waitcnt lgkmcnt(2)
	v_mfma_f32_16x16x16_bf16 v[16:19], v[0:1], v[20:21], v[14:17]
	s_waitcnt lgkmcnt(1)
	v_mfma_f32_16x16x16_bf16 v[20:23], v[0:1], v[22:23], v[10:13]
	;; [unrolled: 2-line block ×3, first 2 shown]
	s_and_saveexec_b64 s[14:15], vcc
	s_cbranch_execz .LBB1_49
; %bb.38:                               ;   in Loop: Header=BB1_9 Depth=1
	v_add_u32_e32 v0, 35, v44
	v_cmp_le_i32_e64 s[0:1], s10, v0
                                        ; implicit-def: $vgpr37
	s_and_saveexec_b64 s[16:17], s[0:1]
	s_xor_b64 s[16:17], exec, s[16:17]
	s_cbranch_execz .LBB1_46
; %bb.39:                               ;   in Loop: Header=BB1_9 Depth=1
	v_add_u32_e32 v0, 32, v44
	v_cmp_gt_i32_e64 s[0:1], s10, v0
	v_mov_b32_e32 v37, 0
	v_mov_b32_e32 v36, 0
	s_and_saveexec_b64 s[18:19], s[0:1]
	s_cbranch_execz .LBB1_41
; %bb.40:                               ;   in Loop: Header=BB1_9 Depth=1
	global_load_ushort v0, v[30:31], off offset:-36
	s_waitcnt vmcnt(0)
	v_and_b32_e32 v36, 0xffff, v0
.LBB1_41:                               ;   in Loop: Header=BB1_9 Depth=1
	s_or_b64 exec, exec, s[18:19]
	v_add_u32_e32 v0, 33, v44
	v_cmp_gt_i32_e64 s[0:1], s10, v0
	s_and_saveexec_b64 s[18:19], s[0:1]
	s_cbranch_execz .LBB1_43
; %bb.42:                               ;   in Loop: Header=BB1_9 Depth=1
	global_load_ushort v0, v[30:31], off offset:-34
	s_waitcnt vmcnt(0)
	v_perm_b32 v36, v0, v36, s25
.LBB1_43:                               ;   in Loop: Header=BB1_9 Depth=1
	s_or_b64 exec, exec, s[18:19]
	v_add_u32_e32 v0, 34, v44
	v_cmp_gt_i32_e64 s[0:1], s10, v0
	s_and_saveexec_b64 s[18:19], s[0:1]
	s_cbranch_execz .LBB1_45
; %bb.44:                               ;   in Loop: Header=BB1_9 Depth=1
	global_load_ushort v0, v[30:31], off offset:-32
	s_waitcnt vmcnt(0)
	v_bfi_b32 v37, s26, v0, v37
.LBB1_45:                               ;   in Loop: Header=BB1_9 Depth=1
	s_or_b64 exec, exec, s[18:19]
.LBB1_46:                               ;   in Loop: Header=BB1_9 Depth=1
	s_andn2_saveexec_b64 s[0:1], s[16:17]
	s_cbranch_execz .LBB1_48
; %bb.47:                               ;   in Loop: Header=BB1_9 Depth=1
	global_load_dwordx2 v[36:37], v[30:31], off offset:-36
.LBB1_48:                               ;   in Loop: Header=BB1_9 Depth=1
	s_or_b64 exec, exec, s[0:1]
.LBB1_49:                               ;   in Loop: Header=BB1_9 Depth=1
	s_or_b64 exec, exec, s[14:15]
	ds_read_b64 v[0:1], v45 offset:32
	ds_read_b64 v[2:3], v45 offset:2208
	;; [unrolled: 1-line block ×4, first 2 shown]
	v_mov_b32_e32 v35, 0
	s_waitcnt lgkmcnt(3)
	v_mfma_f32_16x16x16_bf16 v[12:15], v[32:33], v[0:1], v[6:9]
	s_waitcnt lgkmcnt(2)
	v_mfma_f32_16x16x16_bf16 v[4:7], v[32:33], v[2:3], v[16:19]
	;; [unrolled: 2-line block ×4, first 2 shown]
	s_and_saveexec_b64 s[14:15], vcc
	s_cbranch_execz .LBB1_8
; %bb.50:                               ;   in Loop: Header=BB1_9 Depth=1
	v_add_u32_e32 v16, 51, v44
	v_cmp_le_i32_e64 s[0:1], s10, v16
                                        ; implicit-def: $vgpr35
	s_and_saveexec_b64 s[16:17], s[0:1]
	s_xor_b64 s[16:17], exec, s[16:17]
	s_cbranch_execz .LBB1_58
; %bb.51:                               ;   in Loop: Header=BB1_9 Depth=1
	v_add_u32_e32 v16, 48, v44
	v_cmp_gt_i32_e64 s[0:1], s10, v16
	v_mov_b32_e32 v35, 0
	v_mov_b32_e32 v34, 0
	s_and_saveexec_b64 s[18:19], s[0:1]
	s_cbranch_execz .LBB1_53
; %bb.52:                               ;   in Loop: Header=BB1_9 Depth=1
	global_load_ushort v16, v[30:31], off offset:-4
	s_waitcnt vmcnt(0)
	v_and_b32_e32 v34, 0xffff, v16
.LBB1_53:                               ;   in Loop: Header=BB1_9 Depth=1
	s_or_b64 exec, exec, s[18:19]
	v_add_u32_e32 v16, 49, v44
	v_cmp_gt_i32_e64 s[0:1], s10, v16
	s_and_saveexec_b64 s[18:19], s[0:1]
	s_cbranch_execz .LBB1_55
; %bb.54:                               ;   in Loop: Header=BB1_9 Depth=1
	global_load_ushort v16, v[30:31], off offset:-2
	s_waitcnt vmcnt(0)
	v_perm_b32 v34, v16, v34, s25
.LBB1_55:                               ;   in Loop: Header=BB1_9 Depth=1
	s_or_b64 exec, exec, s[18:19]
	v_add_u32_e32 v16, 50, v44
	v_cmp_gt_i32_e64 s[0:1], s10, v16
	s_and_saveexec_b64 s[18:19], s[0:1]
	s_cbranch_execz .LBB1_57
; %bb.56:                               ;   in Loop: Header=BB1_9 Depth=1
	global_load_ushort v16, v[30:31], off
	s_waitcnt vmcnt(0)
	v_bfi_b32 v35, s26, v16, v35
.LBB1_57:                               ;   in Loop: Header=BB1_9 Depth=1
	s_or_b64 exec, exec, s[18:19]
.LBB1_58:                               ;   in Loop: Header=BB1_9 Depth=1
	s_andn2_saveexec_b64 s[0:1], s[16:17]
	s_cbranch_execz .LBB1_7
; %bb.59:                               ;   in Loop: Header=BB1_9 Depth=1
	global_load_dwordx2 v[34:35], v[30:31], off offset:-4
	s_branch .LBB1_7
.LBB1_60:
	v_mov_b32_e32 v21, v40
.LBB1_61:
	v_or3_b32 v0, v21, v39, s20
	v_or_b32_e32 v21, s11, v38
	v_or_b32_e32 v1, 3, v0
	;; [unrolled: 1-line block ×5, first 2 shown]
	v_cmp_le_i32_e64 s[0:1], s8, v1
	v_cmp_gt_i32_e32 vcc, s9, v21
	s_and_saveexec_b64 s[2:3], s[0:1]
	s_xor_b64 s[10:11], exec, s[2:3]
	s_cbranch_execz .LBB1_81
; %bb.62:
	v_mad_i64_i32 v[22:23], s[0:1], s8, v21, 0
	v_cmp_gt_i32_e64 s[4:5], s9, v20
	v_mad_i64_i32 v[20:21], s[0:1], s8, v20, 0
	s_waitcnt lgkmcnt(0)
	v_lshl_add_u64 v[24:25], v[22:23], 2, s[12:13]
	v_lshl_add_u64 v[22:23], v[20:21], 2, s[12:13]
	v_mad_i64_i32 v[20:21], s[0:1], s8, v19, 0
	v_cmp_gt_i32_e64 s[2:3], s9, v19
	v_cmp_gt_i32_e64 s[0:1], s9, v18
	v_mad_i64_i32 v[18:19], s[6:7], s8, v18, 0
	v_lshl_add_u64 v[20:21], v[20:21], 2, s[12:13]
	v_lshl_add_u64 v[18:19], v[18:19], 2, s[12:13]
	v_cmp_gt_i32_e64 s[6:7], s8, v0
	s_and_saveexec_b64 s[14:15], s[6:7]
	s_cbranch_execz .LBB1_68
; %bb.63:
	s_and_saveexec_b64 s[6:7], vcc
	s_cbranch_execnz .LBB1_91
; %bb.64:
	s_or_b64 exec, exec, s[6:7]
	s_and_saveexec_b64 s[6:7], s[4:5]
	s_cbranch_execnz .LBB1_92
.LBB1_65:
	s_or_b64 exec, exec, s[6:7]
	s_and_saveexec_b64 s[6:7], s[2:3]
	s_cbranch_execnz .LBB1_93
.LBB1_66:
	s_or_b64 exec, exec, s[6:7]
	s_and_b64 exec, exec, s[0:1]
	s_cbranch_execz .LBB1_68
.LBB1_67:
	v_ashrrev_i32_e32 v1, 31, v0
	v_lshl_add_u64 v[26:27], v[0:1], 2, v[18:19]
	global_store_dword v[26:27], v2, off nt
.LBB1_68:
	s_or_b64 exec, exec, s[14:15]
	v_or_b32_e32 v1, 1, v0
	v_cmp_gt_i32_e64 s[6:7], s8, v1
	s_and_saveexec_b64 s[14:15], s[6:7]
	s_cbranch_execz .LBB1_74
; %bb.69:
	s_and_saveexec_b64 s[6:7], vcc
	s_cbranch_execnz .LBB1_94
; %bb.70:
	s_or_b64 exec, exec, s[6:7]
	s_and_saveexec_b64 s[6:7], s[4:5]
	s_cbranch_execnz .LBB1_95
.LBB1_71:
	s_or_b64 exec, exec, s[6:7]
	s_and_saveexec_b64 s[6:7], s[2:3]
	s_cbranch_execnz .LBB1_96
.LBB1_72:
	s_or_b64 exec, exec, s[6:7]
	s_and_b64 exec, exec, s[0:1]
	s_cbranch_execz .LBB1_74
.LBB1_73:
	v_ashrrev_i32_e32 v1, 31, v0
	v_lshl_add_u64 v[6:7], v[0:1], 2, v[18:19]
	global_store_dword v[6:7], v3, off offset:4 nt
.LBB1_74:
	s_or_b64 exec, exec, s[14:15]
	v_or_b32_e32 v1, 2, v0
	v_cmp_gt_i32_e64 s[6:7], s8, v1
	s_and_saveexec_b64 s[14:15], s[6:7]
	s_cbranch_execz .LBB1_80
; %bb.75:
	s_and_saveexec_b64 s[6:7], vcc
	s_cbranch_execnz .LBB1_97
; %bb.76:
	s_or_b64 exec, exec, s[6:7]
	s_and_saveexec_b64 s[6:7], s[4:5]
	s_cbranch_execnz .LBB1_98
.LBB1_77:
	s_or_b64 exec, exec, s[6:7]
	s_and_saveexec_b64 s[4:5], s[2:3]
	s_cbranch_execnz .LBB1_99
.LBB1_78:
	s_or_b64 exec, exec, s[4:5]
	s_and_b64 exec, exec, s[0:1]
	s_cbranch_execz .LBB1_80
.LBB1_79:
	v_ashrrev_i32_e32 v1, 31, v0
	v_lshl_add_u64 v[0:1], v[0:1], 2, v[18:19]
	global_store_dword v[0:1], v4, off offset:8 nt
.LBB1_80:
	s_or_b64 exec, exec, s[14:15]
                                        ; implicit-def: $vgpr0
                                        ; implicit-def: $vgpr21
                                        ; implicit-def: $vgpr20
                                        ; implicit-def: $vgpr19
                                        ; implicit-def: $vgpr18
                                        ; implicit-def: $vgpr9
                                        ; implicit-def: $vgpr17
                                        ; implicit-def: $vgpr13
                                        ; implicit-def: $vgpr5
.LBB1_81:
	s_andn2_saveexec_b64 s[0:1], s[10:11]
	s_cbranch_execz .LBB1_87
; %bb.82:
	v_ashrrev_i32_e32 v1, 31, v0
	s_and_saveexec_b64 s[0:1], vcc
	s_cbranch_execnz .LBB1_88
; %bb.83:
	s_or_b64 exec, exec, s[0:1]
	v_cmp_gt_i32_e32 vcc, s9, v20
	s_and_saveexec_b64 s[0:1], vcc
	s_cbranch_execnz .LBB1_89
.LBB1_84:
	s_or_b64 exec, exec, s[0:1]
	v_cmp_gt_i32_e32 vcc, s9, v19
	s_and_saveexec_b64 s[0:1], vcc
	s_cbranch_execnz .LBB1_90
.LBB1_85:
	s_or_b64 exec, exec, s[0:1]
	v_cmp_gt_i32_e32 vcc, s9, v18
	s_and_saveexec_b64 s[0:1], vcc
	s_cbranch_execz .LBB1_87
.LBB1_86:
	v_mad_i64_i32 v[6:7], s[0:1], s8, v18, 0
	s_waitcnt lgkmcnt(0)
	v_lshl_add_u64 v[6:7], v[6:7], 2, s[12:13]
	v_lshl_add_u64 v[0:1], v[0:1], 2, v[6:7]
	global_store_dwordx4 v[0:1], v[2:5], off
.LBB1_87:
	s_endpgm
.LBB1_88:
	v_mad_i64_i32 v[22:23], s[2:3], s8, v21, 0
	s_waitcnt lgkmcnt(0)
	v_lshl_add_u64 v[22:23], v[22:23], 2, s[12:13]
	v_lshl_add_u64 v[22:23], v[0:1], 2, v[22:23]
	global_store_dwordx4 v[22:23], v[6:9], off
	s_or_b64 exec, exec, s[0:1]
	v_cmp_gt_i32_e32 vcc, s9, v20
	s_and_saveexec_b64 s[0:1], vcc
	s_cbranch_execz .LBB1_84
.LBB1_89:
	v_mad_i64_i32 v[6:7], s[2:3], s8, v20, 0
	s_waitcnt lgkmcnt(0)
	v_lshl_add_u64 v[6:7], v[6:7], 2, s[12:13]
	v_lshl_add_u64 v[6:7], v[0:1], 2, v[6:7]
	global_store_dwordx4 v[6:7], v[14:17], off
	s_or_b64 exec, exec, s[0:1]
	v_cmp_gt_i32_e32 vcc, s9, v19
	s_and_saveexec_b64 s[0:1], vcc
	s_cbranch_execz .LBB1_85
.LBB1_90:
	v_mad_i64_i32 v[6:7], s[2:3], s8, v19, 0
	s_waitcnt lgkmcnt(0)
	v_lshl_add_u64 v[6:7], v[6:7], 2, s[12:13]
	v_lshl_add_u64 v[6:7], v[0:1], 2, v[6:7]
	global_store_dwordx4 v[6:7], v[10:13], off
	s_or_b64 exec, exec, s[0:1]
	v_cmp_gt_i32_e32 vcc, s9, v18
	s_and_saveexec_b64 s[0:1], vcc
	s_cbranch_execnz .LBB1_86
	s_branch .LBB1_87
.LBB1_91:
	v_ashrrev_i32_e32 v1, 31, v0
	v_lshl_add_u64 v[26:27], v[0:1], 2, v[24:25]
	global_store_dword v[26:27], v6, off nt
	s_or_b64 exec, exec, s[6:7]
	s_and_saveexec_b64 s[6:7], s[4:5]
	s_cbranch_execz .LBB1_65
.LBB1_92:
	v_ashrrev_i32_e32 v1, 31, v0
	v_lshl_add_u64 v[26:27], v[0:1], 2, v[22:23]
	global_store_dword v[26:27], v14, off nt
	s_or_b64 exec, exec, s[6:7]
	s_and_saveexec_b64 s[6:7], s[2:3]
	s_cbranch_execz .LBB1_66
.LBB1_93:
	v_ashrrev_i32_e32 v1, 31, v0
	v_lshl_add_u64 v[26:27], v[0:1], 2, v[20:21]
	global_store_dword v[26:27], v10, off nt
	s_or_b64 exec, exec, s[6:7]
	s_and_b64 exec, exec, s[0:1]
	s_cbranch_execnz .LBB1_67
	s_branch .LBB1_68
.LBB1_94:
	v_ashrrev_i32_e32 v1, 31, v0
	v_lshl_add_u64 v[26:27], v[0:1], 2, v[24:25]
	global_store_dword v[26:27], v7, off offset:4 nt
	s_or_b64 exec, exec, s[6:7]
	s_and_saveexec_b64 s[6:7], s[4:5]
	s_cbranch_execz .LBB1_71
.LBB1_95:
	v_ashrrev_i32_e32 v1, 31, v0
	v_lshl_add_u64 v[6:7], v[0:1], 2, v[22:23]
	global_store_dword v[6:7], v15, off offset:4 nt
	s_or_b64 exec, exec, s[6:7]
	s_and_saveexec_b64 s[6:7], s[2:3]
	s_cbranch_execz .LBB1_72
.LBB1_96:
	v_ashrrev_i32_e32 v1, 31, v0
	v_lshl_add_u64 v[6:7], v[0:1], 2, v[20:21]
	global_store_dword v[6:7], v11, off offset:4 nt
	s_or_b64 exec, exec, s[6:7]
	s_and_b64 exec, exec, s[0:1]
	s_cbranch_execnz .LBB1_73
	s_branch .LBB1_74
.LBB1_97:
	v_ashrrev_i32_e32 v1, 31, v0
	v_lshl_add_u64 v[2:3], v[0:1], 2, v[24:25]
	global_store_dword v[2:3], v8, off offset:8 nt
	s_or_b64 exec, exec, s[6:7]
	s_and_saveexec_b64 s[6:7], s[4:5]
	s_cbranch_execz .LBB1_77
.LBB1_98:
	v_ashrrev_i32_e32 v1, 31, v0
	v_lshl_add_u64 v[2:3], v[0:1], 2, v[22:23]
	global_store_dword v[2:3], v16, off offset:8 nt
	s_or_b64 exec, exec, s[6:7]
	s_and_saveexec_b64 s[4:5], s[2:3]
	s_cbranch_execz .LBB1_78
.LBB1_99:
	v_ashrrev_i32_e32 v1, 31, v0
	v_lshl_add_u64 v[2:3], v[0:1], 2, v[20:21]
	global_store_dword v[2:3], v12, off offset:8 nt
	s_or_b64 exec, exec, s[4:5]
	s_and_b64 exec, exec, s[0:1]
	s_cbranch_execnz .LBB1_79
	s_branch .LBB1_80
	.section	.rodata,"a",@progbits
	.p2align	6, 0x0
	.amdhsa_kernel _Z25gemm_bf16_f32_mfma_logitsPK14__hip_bfloat16PKfPfiii
		.amdhsa_group_segment_fixed_size 17408
		.amdhsa_private_segment_fixed_size 0
		.amdhsa_kernarg_size 36
		.amdhsa_user_sgpr_count 2
		.amdhsa_user_sgpr_dispatch_ptr 0
		.amdhsa_user_sgpr_queue_ptr 0
		.amdhsa_user_sgpr_kernarg_segment_ptr 1
		.amdhsa_user_sgpr_dispatch_id 0
		.amdhsa_user_sgpr_kernarg_preload_length 0
		.amdhsa_user_sgpr_kernarg_preload_offset 0
		.amdhsa_user_sgpr_private_segment_size 0
		.amdhsa_uses_dynamic_stack 0
		.amdhsa_enable_private_segment 0
		.amdhsa_system_sgpr_workgroup_id_x 1
		.amdhsa_system_sgpr_workgroup_id_y 1
		.amdhsa_system_sgpr_workgroup_id_z 0
		.amdhsa_system_sgpr_workgroup_info 0
		.amdhsa_system_vgpr_workitem_id 0
		.amdhsa_next_free_vgpr 54
		.amdhsa_next_free_sgpr 28
		.amdhsa_accum_offset 56
		.amdhsa_reserve_vcc 1
		.amdhsa_float_round_mode_32 0
		.amdhsa_float_round_mode_16_64 0
		.amdhsa_float_denorm_mode_32 3
		.amdhsa_float_denorm_mode_16_64 3
		.amdhsa_dx10_clamp 1
		.amdhsa_ieee_mode 1
		.amdhsa_fp16_overflow 0
		.amdhsa_tg_split 0
		.amdhsa_exception_fp_ieee_invalid_op 0
		.amdhsa_exception_fp_denorm_src 0
		.amdhsa_exception_fp_ieee_div_zero 0
		.amdhsa_exception_fp_ieee_overflow 0
		.amdhsa_exception_fp_ieee_underflow 0
		.amdhsa_exception_fp_ieee_inexact 0
		.amdhsa_exception_int_div_zero 0
	.end_amdhsa_kernel
	.text
.Lfunc_end1:
	.size	_Z25gemm_bf16_f32_mfma_logitsPK14__hip_bfloat16PKfPfiii, .Lfunc_end1-_Z25gemm_bf16_f32_mfma_logitsPK14__hip_bfloat16PKfPfiii
                                        ; -- End function
	.set _Z25gemm_bf16_f32_mfma_logitsPK14__hip_bfloat16PKfPfiii.num_vgpr, 54
	.set _Z25gemm_bf16_f32_mfma_logitsPK14__hip_bfloat16PKfPfiii.num_agpr, 0
	.set _Z25gemm_bf16_f32_mfma_logitsPK14__hip_bfloat16PKfPfiii.numbered_sgpr, 28
	.set _Z25gemm_bf16_f32_mfma_logitsPK14__hip_bfloat16PKfPfiii.num_named_barrier, 0
	.set _Z25gemm_bf16_f32_mfma_logitsPK14__hip_bfloat16PKfPfiii.private_seg_size, 0
	.set _Z25gemm_bf16_f32_mfma_logitsPK14__hip_bfloat16PKfPfiii.uses_vcc, 1
	.set _Z25gemm_bf16_f32_mfma_logitsPK14__hip_bfloat16PKfPfiii.uses_flat_scratch, 0
	.set _Z25gemm_bf16_f32_mfma_logitsPK14__hip_bfloat16PKfPfiii.has_dyn_sized_stack, 0
	.set _Z25gemm_bf16_f32_mfma_logitsPK14__hip_bfloat16PKfPfiii.has_recursion, 0
	.set _Z25gemm_bf16_f32_mfma_logitsPK14__hip_bfloat16PKfPfiii.has_indirect_call, 0
	.section	.AMDGPU.csdata,"",@progbits
; Kernel info:
; codeLenInByte = 2924
; TotalNumSgprs: 34
; NumVgprs: 54
; NumAgprs: 0
; TotalNumVgprs: 54
; ScratchSize: 0
; MemoryBound: 0
; FloatMode: 240
; IeeeMode: 1
; LDSByteSize: 17408 bytes/workgroup (compile time only)
; SGPRBlocks: 4
; VGPRBlocks: 6
; NumSGPRsForWavesPerEU: 34
; NumVGPRsForWavesPerEU: 54
; AccumOffset: 56
; Occupancy: 8
; WaveLimiterHint : 0
; COMPUTE_PGM_RSRC2:SCRATCH_EN: 0
; COMPUTE_PGM_RSRC2:USER_SGPR: 2
; COMPUTE_PGM_RSRC2:TRAP_HANDLER: 0
; COMPUTE_PGM_RSRC2:TGID_X_EN: 1
; COMPUTE_PGM_RSRC2:TGID_Y_EN: 1
; COMPUTE_PGM_RSRC2:TGID_Z_EN: 0
; COMPUTE_PGM_RSRC2:TIDIG_COMP_CNT: 0
; COMPUTE_PGM_RSRC3_GFX90A:ACCUM_OFFSET: 13
; COMPUTE_PGM_RSRC3_GFX90A:TG_SPLIT: 0
	.text
	.protected	_Z20gemm_bf16_f32_mfma_oPK14__hip_bfloat16PKfPfS1_iii ; -- Begin function _Z20gemm_bf16_f32_mfma_oPK14__hip_bfloat16PKfPfS1_iii
	.globl	_Z20gemm_bf16_f32_mfma_oPK14__hip_bfloat16PKfPfS1_iii
	.p2align	8
	.type	_Z20gemm_bf16_f32_mfma_oPK14__hip_bfloat16PKfPfS1_iii,@function
_Z20gemm_bf16_f32_mfma_oPK14__hip_bfloat16PKfPfS1_iii: ; @_Z20gemm_bf16_f32_mfma_oPK14__hip_bfloat16PKfPfS1_iii
; %bb.0:
	s_load_dwordx2 s[8:9], s[0:1], 0x18
	s_load_dwordx4 s[16:19], s[0:1], 0x20
	v_lshrrev_b32_e32 v2, 2, v0
	s_lshl_b32 s20, s3, 8
	v_and_b32_e32 v1, 0xf0, v2
	v_or_b32_e32 v8, s20, v1
	v_and_b32_e32 v38, 12, v2
	v_or_b32_e32 v24, v8, v38
	v_mov_b32_e32 v2, 0
	s_waitcnt lgkmcnt(0)
	v_cmp_gt_i32_e64 s[12:13], s16, v24
	v_mov_b32_e32 v3, v2
	v_mov_b32_e32 v4, v2
	;; [unrolled: 1-line block ×3, first 2 shown]
	s_and_saveexec_b64 s[4:5], s[12:13]
	s_cbranch_execz .LBB2_2
; %bb.1:
	v_ashrrev_i32_e32 v25, 31, v24
	v_lshl_add_u64 v[4:5], v[24:25], 1, s[8:9]
	global_load_ushort v3, v[4:5], off
	v_mov_b32_e32 v5, v2
	v_mov_b32_e32 v6, v2
	;; [unrolled: 1-line block ×3, first 2 shown]
	s_waitcnt vmcnt(0)
	v_lshlrev_b32_e32 v4, 16, v3
	v_mov_b64_e32 v[2:3], v[4:5]
	v_mov_b64_e32 v[4:5], v[6:7]
.LBB2_2:
	s_or_b64 exec, exec, s[4:5]
	v_or_b32_e32 v6, 1, v24
	v_cmp_gt_i32_e64 s[10:11], s16, v6
	s_and_saveexec_b64 s[4:5], s[10:11]
	s_cbranch_execz .LBB2_4
; %bb.3:
	v_ashrrev_i32_e32 v25, 31, v24
	v_lshl_add_u64 v[6:7], v[24:25], 1, s[8:9]
	global_load_ushort v3, v[6:7], off offset:2
	s_waitcnt vmcnt(0)
	v_lshlrev_b32_e32 v3, 16, v3
.LBB2_4:
	s_or_b64 exec, exec, s[4:5]
	v_or_b32_e32 v6, 2, v24
	v_cmp_gt_i32_e32 vcc, s16, v6
	s_and_saveexec_b64 s[4:5], vcc
	s_cbranch_execz .LBB2_6
; %bb.5:
	v_ashrrev_i32_e32 v25, 31, v24
	v_lshl_add_u64 v[6:7], v[24:25], 1, s[8:9]
	global_load_ushort v4, v[6:7], off offset:4
	s_waitcnt vmcnt(0)
	v_lshlrev_b32_e32 v4, 16, v4
.LBB2_6:
	s_or_b64 exec, exec, s[4:5]
	v_or_b32_e32 v6, 3, v24
	v_cmp_le_i32_e64 s[4:5], s16, v6
	v_cmp_gt_i32_e64 s[6:7], s16, v6
	s_and_saveexec_b64 s[14:15], s[6:7]
	s_cbranch_execz .LBB2_8
; %bb.7:
	v_ashrrev_i32_e32 v25, 31, v24
	v_lshl_add_u64 v[6:7], v[24:25], 1, s[8:9]
	global_load_ushort v5, v[6:7], off offset:6
	s_waitcnt vmcnt(0)
	v_lshlrev_b32_e32 v5, 16, v5
.LBB2_8:
	s_or_b64 exec, exec, s[14:15]
	s_load_dwordx2 s[14:15], s[0:1], 0x8
	s_lshl_b32 s19, s2, 6
	v_lshrrev_b32_e32 v12, 4, v0
	v_lshlrev_b32_e32 v6, 2, v0
	v_and_b32_e32 v9, 60, v6
	v_or_b32_e32 v10, s19, v12
	v_cmp_gt_i32_e64 s[6:7], s17, v10
	v_cmp_gt_i32_e64 s[2:3], s18, v9
	v_mov_b32_e32 v6, 0
	s_and_b64 s[2:3], s[6:7], s[2:3]
	v_ashrrev_i32_e32 v11, 31, v10
	v_mov_b32_e32 v7, v6
	s_and_saveexec_b64 s[8:9], s[2:3]
	s_xor_b64 s[2:3], exec, s[8:9]
	s_cbranch_execz .LBB2_10
; %bb.9:
	v_mad_u64_u32 v[6:7], s[8:9], s18, v10, 0
	v_mov_b32_e32 v14, v7
	v_mad_u64_u32 v[14:15], s[8:9], s18, v11, v[14:15]
	v_mov_b32_e32 v7, v14
	s_waitcnt lgkmcnt(0)
	v_lshl_add_u64 v[6:7], v[6:7], 2, s[14:15]
	v_lshlrev_b32_e32 v14, 2, v9
	v_mov_b32_e32 v15, 0
	v_lshl_add_u64 v[6:7], v[6:7], 0, v[14:15]
	global_load_dwordx4 v[14:17], v[6:7], off
	s_mov_b32 s8, 0x5040100
	s_waitcnt vmcnt(0)
	v_cvt_pk_bf16_f32 v6, v14, s0
	v_cvt_pk_bf16_f32 v7, v15, v16
	;; [unrolled: 1-line block ×3, first 2 shown]
	v_perm_b32 v6, v7, v6, s8
	v_alignbit_b32 v7, v13, v7, 16
.LBB2_10:
	s_or_b64 exec, exec, s[2:3]
	s_load_dwordx2 s[2:3], s[0:1], 0x10
	v_lshlrev_b32_e32 v13, 1, v9
	s_movk_i32 s21, 0x88
	v_and_b32_e32 v25, 15, v0
	s_mov_b32 s28, 1
	v_mad_u32_u24 v39, v12, s21, v13
	s_cmp_lt_i32 s18, 1
	ds_write_b64 v39, v[6:7]
	s_waitcnt lgkmcnt(0)
	s_barrier
	s_cbranch_scc1 .LBB2_65
; %bb.11:
	s_add_i32 s8, s18, 63
	s_ashr_i32 s9, s8, 31
	s_lshr_b32 s9, s9, 26
	s_add_i32 s8, s8, s9
	s_ashr_i32 s29, s8, 6
	v_or_b32_e32 v6, v8, v25
	v_cmp_gt_i32_e64 s[8:9], s16, v6
	s_max_i32 s22, s29, 1
	v_lshlrev_b32_e32 v6, 1, v38
	v_mad_u32_u24 v40, v25, s21, v6
	s_lshl_b32 s30, s22, 6
	v_mad_u64_u32 v[6:7], s[22:23], v10, s18, 0
	v_mov_b32_e32 v8, v7
	v_mad_u64_u32 v[10:11], s[22:23], v11, s18, v[8:9]
	v_mov_b32_e32 v7, v10
	v_lshlrev_b32_e32 v10, 4, v25
	v_mov_b32_e32 v11, 0
	v_lshl_add_u64 v[6:7], v[6:7], 2, v[10:11]
	v_lshl_add_u64 v[6:7], s[14:15], 0, v[6:7]
	s_mov_b64 s[14:15], 0x100
	v_add3_u32 v1, s20, v1, v25
	s_load_dwordx2 s[0:1], s[0:1], 0x0
	v_lshl_add_u64 v[26:27], v[6:7], 0, s[14:15]
	v_mad_u64_u32 v[6:7], s[20:21], v1, s18, 0
	v_ashrrev_i32_e32 v10, 31, v1
	v_mov_b32_e32 v8, v7
	v_mad_u64_u32 v[12:13], s[20:21], v10, s18, v[8:9]
	v_lshrrev_b32_e32 v0, 1, v0
	v_mov_b32_e32 v7, v12
	v_and_b32_e32 v10, 24, v0
	v_lshl_add_u64 v[0:1], v[6:7], 1, v[10:11]
	s_waitcnt lgkmcnt(0)
	v_lshl_add_u64 v[0:1], s[0:1], 0, v[0:1]
	s_mov_b64 s[0:1], 0x64
	v_or_b32_e32 v41, 64, v9
	v_mov_b64_e32 v[16:17], v[4:5]
	v_mov_b64_e32 v[12:13], v[4:5]
	;; [unrolled: 1-line block ×3, first 2 shown]
	v_lshl_add_u64 v[28:29], v[0:1], 0, s[0:1]
	s_mov_b32 s31, 0
	s_mov_b32 s33, 0x5040100
	;; [unrolled: 1-line block ×3, first 2 shown]
	s_mov_b64 s[20:21], 0x80
	v_mov_b64_e32 v[14:15], v[2:3]
	v_mov_b64_e32 v[10:11], v[2:3]
	;; [unrolled: 1-line block ×3, first 2 shown]
	s_branch .LBB2_14
.LBB2_12:                               ;   in Loop: Header=BB2_14 Depth=1
	s_or_b64 exec, exec, s[0:1]
.LBB2_13:                               ;   in Loop: Header=BB2_14 Depth=1
	s_or_b64 exec, exec, s[22:23]
	ds_read2_b64 v[16:19], v43 offset0:8 offset1:12
	v_add_u32_e32 v20, 0x800, v43
	ds_read2_b64 v[20:23], v20 offset0:24 offset1:28
	s_add_i32 s31, s31, 64
	s_add_i32 s28, s28, 1
	s_waitcnt vmcnt(0) lgkmcnt(1)
	v_mfma_f32_16x16x16_bf16 v[12:15], v[34:35], v[16:17], v[12:15]
	v_add_u32_e32 v16, 0x1000, v43
	v_lshl_add_u64 v[26:27], v[26:27], 0, s[14:15]
	v_lshl_add_u64 v[28:29], v[28:29], 0, s[20:21]
	s_waitcnt lgkmcnt(0)
	v_mfma_f32_16x16x16_bf16 v[44:47], v[34:35], v[20:21], v[4:7]
	s_cmp_eq_u32 s30, s31
	s_nop 1
	ds_read2_b64 v[4:7], v16 offset0:40 offset1:44
	v_add_u32_e32 v16, 0x1800, v43
	ds_read2_b64 v[52:55], v16 offset0:56 offset1:60
	s_waitcnt lgkmcnt(1)
	v_mfma_f32_16x16x16_bf16 v[48:51], v[34:35], v[4:5], v[0:3]
	s_waitcnt lgkmcnt(0)
	s_barrier
	v_mfma_f32_16x16x16_bf16 v[34:37], v[34:35], v[52:53], v[8:11]
	v_mfma_f32_16x16x16_bf16 v[2:5], v[32:33], v[18:19], v[12:15]
	;; [unrolled: 1-line block ×5, first 2 shown]
	s_cbranch_scc1 .LBB2_66
.LBB2_14:                               ; =>This Inner Loop Header: Depth=1
	s_add_i32 s0, s28, -1
	s_and_b32 s35, s0, 1
	s_cmp_ge_i32 s28, s29
	s_cbranch_scc1 .LBB2_18
; %bb.15:                               ;   in Loop: Header=BB2_14 Depth=1
	v_add_u32_e32 v0, s31, v41
	v_cmp_gt_i32_e64 s[0:1], s18, v0
	s_and_b64 s[22:23], s[6:7], s[0:1]
	v_mov_b32_e32 v0, 0
	v_mov_b32_e32 v1, 0
	s_and_saveexec_b64 s[0:1], s[22:23]
	s_cbranch_execz .LBB2_17
; %bb.16:                               ;   in Loop: Header=BB2_14 Depth=1
	global_load_dwordx4 v[18:21], v[26:27], off
	s_waitcnt vmcnt(0)
	v_cvt_pk_bf16_f32 v0, v18, s0
	v_cvt_pk_bf16_f32 v1, v19, v20
	;; [unrolled: 1-line block ×3, first 2 shown]
	v_perm_b32 v0, v1, v0, s33
	v_alignbit_b32 v1, v18, v1, 16
.LBB2_17:                               ;   in Loop: Header=BB2_14 Depth=1
	s_or_b64 exec, exec, s[0:1]
	s_xor_b32 s0, s35, 1
	s_mulk_i32 s0, 0x2200
	v_add_u32_e32 v18, s0, v39
	ds_write_b64 v18, v[0:1]
.LBB2_18:                               ;   in Loop: Header=BB2_14 Depth=1
	v_add_u32_e32 v42, s31, v38
	v_mov_b32_e32 v30, 0
	v_mov_b32_e32 v36, 0
	;; [unrolled: 1-line block ×3, first 2 shown]
	s_and_saveexec_b64 s[22:23], s[8:9]
	s_cbranch_execz .LBB2_30
; %bb.19:                               ;   in Loop: Header=BB2_14 Depth=1
	v_add_u32_e32 v0, 3, v42
	v_cmp_le_i32_e64 s[0:1], s18, v0
                                        ; implicit-def: $vgpr37
	s_and_saveexec_b64 s[24:25], s[0:1]
	s_xor_b64 s[24:25], exec, s[24:25]
	s_cbranch_execz .LBB2_27
; %bb.20:                               ;   in Loop: Header=BB2_14 Depth=1
	v_cmp_gt_i32_e64 s[0:1], s18, v42
	v_mov_b32_e32 v37, 0
	v_mov_b32_e32 v36, 0
	s_and_saveexec_b64 s[26:27], s[0:1]
	s_cbranch_execz .LBB2_22
; %bb.21:                               ;   in Loop: Header=BB2_14 Depth=1
	global_load_ushort v0, v[28:29], off offset:-100
	s_waitcnt vmcnt(0)
	v_and_b32_e32 v36, 0xffff, v0
.LBB2_22:                               ;   in Loop: Header=BB2_14 Depth=1
	s_or_b64 exec, exec, s[26:27]
	v_add_u32_e32 v0, 1, v42
	v_cmp_gt_i32_e64 s[0:1], s18, v0
	s_and_saveexec_b64 s[26:27], s[0:1]
	s_cbranch_execz .LBB2_24
; %bb.23:                               ;   in Loop: Header=BB2_14 Depth=1
	global_load_ushort v0, v[28:29], off offset:-98
	s_waitcnt vmcnt(0)
	v_perm_b32 v36, v0, v36, s33
.LBB2_24:                               ;   in Loop: Header=BB2_14 Depth=1
	s_or_b64 exec, exec, s[26:27]
	v_add_u32_e32 v0, 2, v42
	v_cmp_gt_i32_e64 s[0:1], s18, v0
	s_and_saveexec_b64 s[26:27], s[0:1]
	s_cbranch_execz .LBB2_26
; %bb.25:                               ;   in Loop: Header=BB2_14 Depth=1
	global_load_ushort v0, v[28:29], off offset:-96
	s_waitcnt vmcnt(0)
	v_bfi_b32 v37, s34, v0, v37
.LBB2_26:                               ;   in Loop: Header=BB2_14 Depth=1
	s_or_b64 exec, exec, s[26:27]
.LBB2_27:                               ;   in Loop: Header=BB2_14 Depth=1
	s_andn2_saveexec_b64 s[0:1], s[24:25]
	s_cbranch_execz .LBB2_29
; %bb.28:                               ;   in Loop: Header=BB2_14 Depth=1
	global_load_dwordx2 v[36:37], v[28:29], off offset:-100
.LBB2_29:                               ;   in Loop: Header=BB2_14 Depth=1
	s_or_b64 exec, exec, s[0:1]
.LBB2_30:                               ;   in Loop: Header=BB2_14 Depth=1
	s_or_b64 exec, exec, s[22:23]
	v_mov_b32_e32 v31, 0
	s_and_saveexec_b64 s[22:23], s[8:9]
	s_cbranch_execz .LBB2_42
; %bb.31:                               ;   in Loop: Header=BB2_14 Depth=1
	v_add_u32_e32 v0, 19, v42
	v_cmp_le_i32_e64 s[0:1], s18, v0
                                        ; implicit-def: $vgpr31
	s_and_saveexec_b64 s[24:25], s[0:1]
	s_xor_b64 s[24:25], exec, s[24:25]
	s_cbranch_execz .LBB2_39
; %bb.32:                               ;   in Loop: Header=BB2_14 Depth=1
	v_add_u32_e32 v0, 16, v42
	v_cmp_gt_i32_e64 s[0:1], s18, v0
	v_mov_b32_e32 v31, 0
	v_mov_b32_e32 v30, 0
	s_and_saveexec_b64 s[26:27], s[0:1]
	s_cbranch_execz .LBB2_34
; %bb.33:                               ;   in Loop: Header=BB2_14 Depth=1
	global_load_ushort v0, v[28:29], off offset:-68
	s_waitcnt vmcnt(0)
	v_and_b32_e32 v30, 0xffff, v0
.LBB2_34:                               ;   in Loop: Header=BB2_14 Depth=1
	s_or_b64 exec, exec, s[26:27]
	v_add_u32_e32 v0, 17, v42
	v_cmp_gt_i32_e64 s[0:1], s18, v0
	s_and_saveexec_b64 s[26:27], s[0:1]
	s_cbranch_execz .LBB2_36
; %bb.35:                               ;   in Loop: Header=BB2_14 Depth=1
	global_load_ushort v0, v[28:29], off offset:-66
	s_waitcnt vmcnt(0)
	v_perm_b32 v30, v0, v30, s33
.LBB2_36:                               ;   in Loop: Header=BB2_14 Depth=1
	s_or_b64 exec, exec, s[26:27]
	v_add_u32_e32 v0, 18, v42
	v_cmp_gt_i32_e64 s[0:1], s18, v0
	s_and_saveexec_b64 s[26:27], s[0:1]
	s_cbranch_execz .LBB2_38
; %bb.37:                               ;   in Loop: Header=BB2_14 Depth=1
	global_load_ushort v0, v[28:29], off offset:-64
	s_waitcnt vmcnt(0)
	v_bfi_b32 v31, s34, v0, v31
.LBB2_38:                               ;   in Loop: Header=BB2_14 Depth=1
	s_or_b64 exec, exec, s[26:27]
.LBB2_39:                               ;   in Loop: Header=BB2_14 Depth=1
	s_andn2_saveexec_b64 s[0:1], s[24:25]
	s_cbranch_execz .LBB2_41
; %bb.40:                               ;   in Loop: Header=BB2_14 Depth=1
	global_load_dwordx2 v[30:31], v[28:29], off offset:-68
.LBB2_41:                               ;   in Loop: Header=BB2_14 Depth=1
	s_or_b64 exec, exec, s[0:1]
.LBB2_42:                               ;   in Loop: Header=BB2_14 Depth=1
	s_or_b64 exec, exec, s[22:23]
	s_mulk_i32 s35, 0x2200
	v_add_u32_e32 v43, s35, v40
	ds_read_b64 v[0:1], v43
	ds_read_b64 v[18:19], v43 offset:2176
	ds_read_b64 v[20:21], v43 offset:4352
	;; [unrolled: 1-line block ×3, first 2 shown]
	v_mov_b32_e32 v32, 0
	s_waitcnt vmcnt(0) lgkmcnt(3)
	v_mfma_f32_16x16x16_bf16 v[0:3], v[36:37], v[0:1], v[2:5]
	v_mov_b32_e32 v34, 0
	v_mov_b32_e32 v35, 0
	s_waitcnt lgkmcnt(2)
	v_mfma_f32_16x16x16_bf16 v[16:19], v[36:37], v[18:19], v[14:17]
	s_waitcnt lgkmcnt(1)
	v_mfma_f32_16x16x16_bf16 v[20:23], v[36:37], v[20:21], v[10:13]
	;; [unrolled: 2-line block ×3, first 2 shown]
	s_and_saveexec_b64 s[22:23], s[8:9]
	s_cbranch_execz .LBB2_54
; %bb.43:                               ;   in Loop: Header=BB2_14 Depth=1
	v_add_u32_e32 v4, 35, v42
	v_cmp_le_i32_e64 s[0:1], s18, v4
                                        ; implicit-def: $vgpr35
	s_and_saveexec_b64 s[24:25], s[0:1]
	s_xor_b64 s[24:25], exec, s[24:25]
	s_cbranch_execz .LBB2_51
; %bb.44:                               ;   in Loop: Header=BB2_14 Depth=1
	v_add_u32_e32 v4, 32, v42
	v_cmp_gt_i32_e64 s[0:1], s18, v4
	v_mov_b32_e32 v35, 0
	v_mov_b32_e32 v34, 0
	s_and_saveexec_b64 s[26:27], s[0:1]
	s_cbranch_execz .LBB2_46
; %bb.45:                               ;   in Loop: Header=BB2_14 Depth=1
	global_load_ushort v4, v[28:29], off offset:-36
	s_waitcnt vmcnt(0)
	v_and_b32_e32 v34, 0xffff, v4
.LBB2_46:                               ;   in Loop: Header=BB2_14 Depth=1
	s_or_b64 exec, exec, s[26:27]
	v_add_u32_e32 v4, 33, v42
	v_cmp_gt_i32_e64 s[0:1], s18, v4
	s_and_saveexec_b64 s[26:27], s[0:1]
	s_cbranch_execz .LBB2_48
; %bb.47:                               ;   in Loop: Header=BB2_14 Depth=1
	global_load_ushort v4, v[28:29], off offset:-34
	s_waitcnt vmcnt(0)
	v_perm_b32 v34, v4, v34, s33
.LBB2_48:                               ;   in Loop: Header=BB2_14 Depth=1
	s_or_b64 exec, exec, s[26:27]
	v_add_u32_e32 v4, 34, v42
	v_cmp_gt_i32_e64 s[0:1], s18, v4
	s_and_saveexec_b64 s[26:27], s[0:1]
	s_cbranch_execz .LBB2_50
; %bb.49:                               ;   in Loop: Header=BB2_14 Depth=1
	global_load_ushort v4, v[28:29], off offset:-32
	s_waitcnt vmcnt(0)
	v_bfi_b32 v35, s34, v4, v35
.LBB2_50:                               ;   in Loop: Header=BB2_14 Depth=1
	s_or_b64 exec, exec, s[26:27]
.LBB2_51:                               ;   in Loop: Header=BB2_14 Depth=1
	s_andn2_saveexec_b64 s[0:1], s[24:25]
	s_cbranch_execz .LBB2_53
; %bb.52:                               ;   in Loop: Header=BB2_14 Depth=1
	global_load_dwordx2 v[34:35], v[28:29], off offset:-36
.LBB2_53:                               ;   in Loop: Header=BB2_14 Depth=1
	s_or_b64 exec, exec, s[0:1]
.LBB2_54:                               ;   in Loop: Header=BB2_14 Depth=1
	s_or_b64 exec, exec, s[22:23]
	ds_read_b64 v[4:5], v43 offset:32
	ds_read_b64 v[6:7], v43 offset:2208
	;; [unrolled: 1-line block ×4, first 2 shown]
	v_mov_b32_e32 v33, 0
	s_waitcnt lgkmcnt(3)
	v_mfma_f32_16x16x16_bf16 v[12:15], v[30:31], v[4:5], v[0:3]
	s_waitcnt lgkmcnt(2)
	v_mfma_f32_16x16x16_bf16 v[4:7], v[30:31], v[6:7], v[16:19]
	;; [unrolled: 2-line block ×4, first 2 shown]
	s_and_saveexec_b64 s[22:23], s[8:9]
	s_cbranch_execz .LBB2_13
; %bb.55:                               ;   in Loop: Header=BB2_14 Depth=1
	v_add_u32_e32 v16, 51, v42
	v_cmp_le_i32_e64 s[0:1], s18, v16
                                        ; implicit-def: $vgpr33
	s_and_saveexec_b64 s[24:25], s[0:1]
	s_xor_b64 s[24:25], exec, s[24:25]
	s_cbranch_execz .LBB2_63
; %bb.56:                               ;   in Loop: Header=BB2_14 Depth=1
	v_add_u32_e32 v16, 48, v42
	v_cmp_gt_i32_e64 s[0:1], s18, v16
	v_mov_b32_e32 v33, 0
	v_mov_b32_e32 v32, 0
	s_and_saveexec_b64 s[26:27], s[0:1]
	s_cbranch_execz .LBB2_58
; %bb.57:                               ;   in Loop: Header=BB2_14 Depth=1
	global_load_ushort v16, v[28:29], off offset:-4
	s_waitcnt vmcnt(0)
	v_and_b32_e32 v32, 0xffff, v16
.LBB2_58:                               ;   in Loop: Header=BB2_14 Depth=1
	s_or_b64 exec, exec, s[26:27]
	v_add_u32_e32 v16, 49, v42
	v_cmp_gt_i32_e64 s[0:1], s18, v16
	s_and_saveexec_b64 s[26:27], s[0:1]
	s_cbranch_execz .LBB2_60
; %bb.59:                               ;   in Loop: Header=BB2_14 Depth=1
	global_load_ushort v16, v[28:29], off offset:-2
	s_waitcnt vmcnt(0)
	v_perm_b32 v32, v16, v32, s33
.LBB2_60:                               ;   in Loop: Header=BB2_14 Depth=1
	s_or_b64 exec, exec, s[26:27]
	v_add_u32_e32 v16, 50, v42
	v_cmp_gt_i32_e64 s[0:1], s18, v16
	s_and_saveexec_b64 s[26:27], s[0:1]
	s_cbranch_execz .LBB2_62
; %bb.61:                               ;   in Loop: Header=BB2_14 Depth=1
	global_load_ushort v16, v[28:29], off
	s_waitcnt vmcnt(0)
	v_bfi_b32 v33, s34, v16, v33
.LBB2_62:                               ;   in Loop: Header=BB2_14 Depth=1
	s_or_b64 exec, exec, s[26:27]
.LBB2_63:                               ;   in Loop: Header=BB2_14 Depth=1
	s_andn2_saveexec_b64 s[0:1], s[24:25]
	s_cbranch_execz .LBB2_12
; %bb.64:                               ;   in Loop: Header=BB2_14 Depth=1
	global_load_dwordx2 v[32:33], v[28:29], off offset:-4
	s_branch .LBB2_12
.LBB2_65:
	v_mov_b64_e32 v[16:17], v[4:5]
	v_mov_b64_e32 v[12:13], v[4:5]
	;; [unrolled: 1-line block ×6, first 2 shown]
.LBB2_66:
	v_or_b32_e32 v19, s19, v25
	v_or_b32_e32 v18, 16, v19
	;; [unrolled: 1-line block ×4, first 2 shown]
	v_cmp_gt_i32_e64 s[6:7], s17, v19
	s_and_saveexec_b64 s[0:1], s[4:5]
	s_xor_b64 s[14:15], exec, s[0:1]
	s_cbranch_execz .LBB2_86
; %bb.67:
	v_mad_i64_i32 v[20:21], s[0:1], s16, v19, 0
	v_cmp_gt_i32_e64 s[8:9], s17, v18
	v_mad_i64_i32 v[18:19], s[0:1], s16, v18, 0
	v_lshl_add_u64 v[22:23], v[20:21], 2, s[2:3]
	v_lshl_add_u64 v[20:21], v[18:19], 2, s[2:3]
	v_mad_i64_i32 v[18:19], s[4:5], s16, v1, 0
	v_cmp_gt_i32_e64 s[0:1], s17, v1
	v_cmp_gt_i32_e64 s[4:5], s17, v0
	v_mad_i64_i32 v[0:1], s[18:19], s16, v0, 0
	v_lshl_add_u64 v[18:19], v[18:19], 2, s[2:3]
	v_lshl_add_u64 v[0:1], v[0:1], 2, s[2:3]
	s_and_saveexec_b64 s[18:19], s[12:13]
	s_cbranch_execz .LBB2_73
; %bb.68:
	s_and_saveexec_b64 s[12:13], s[6:7]
	s_cbranch_execnz .LBB2_96
; %bb.69:
	s_or_b64 exec, exec, s[12:13]
	s_and_saveexec_b64 s[12:13], s[8:9]
	s_cbranch_execnz .LBB2_97
.LBB2_70:
	s_or_b64 exec, exec, s[12:13]
	s_and_saveexec_b64 s[12:13], s[0:1]
	s_cbranch_execnz .LBB2_98
.LBB2_71:
	s_or_b64 exec, exec, s[12:13]
	s_and_b64 exec, exec, s[4:5]
	s_cbranch_execz .LBB2_73
.LBB2_72:
	v_ashrrev_i32_e32 v25, 31, v24
	v_lshl_add_u64 v[26:27], v[24:25], 2, v[0:1]
	global_store_dword v[26:27], v6, off nt
.LBB2_73:
	s_or_b64 exec, exec, s[18:19]
	s_and_saveexec_b64 s[12:13], s[10:11]
	s_cbranch_execz .LBB2_79
; %bb.74:
	s_and_saveexec_b64 s[10:11], s[6:7]
	s_cbranch_execnz .LBB2_99
; %bb.75:
	s_or_b64 exec, exec, s[10:11]
	s_and_saveexec_b64 s[10:11], s[8:9]
	s_cbranch_execnz .LBB2_100
.LBB2_76:
	s_or_b64 exec, exec, s[10:11]
	s_and_saveexec_b64 s[10:11], s[0:1]
	s_cbranch_execnz .LBB2_101
.LBB2_77:
	s_or_b64 exec, exec, s[10:11]
	s_and_b64 exec, exec, s[4:5]
	s_cbranch_execz .LBB2_79
.LBB2_78:
	v_ashrrev_i32_e32 v25, 31, v24
	v_lshl_add_u64 v[2:3], v[24:25], 2, v[0:1]
	global_store_dword v[2:3], v7, off offset:4 nt
.LBB2_79:
	s_or_b64 exec, exec, s[12:13]
	s_and_saveexec_b64 s[10:11], vcc
	s_cbranch_execz .LBB2_85
; %bb.80:
	s_and_saveexec_b64 s[12:13], s[6:7]
	s_cbranch_execnz .LBB2_102
; %bb.81:
	s_or_b64 exec, exec, s[12:13]
	s_and_saveexec_b64 s[12:13], s[8:9]
	s_cbranch_execnz .LBB2_103
.LBB2_82:
	s_or_b64 exec, exec, s[12:13]
	s_and_saveexec_b64 s[8:9], s[0:1]
	s_cbranch_execnz .LBB2_104
.LBB2_83:
	s_or_b64 exec, exec, s[8:9]
	s_and_b64 exec, exec, s[4:5]
	s_cbranch_execz .LBB2_85
.LBB2_84:
	v_ashrrev_i32_e32 v25, 31, v24
	v_lshl_add_u64 v[0:1], v[24:25], 2, v[0:1]
	global_store_dword v[0:1], v8, off offset:8 nt
.LBB2_85:
	s_or_b64 exec, exec, s[10:11]
                                        ; implicit-def: $vgpr24
                                        ; implicit-def: $vgpr19
                                        ; implicit-def: $vgpr18
                                        ; implicit-def: $vgpr1
                                        ; implicit-def: $vgpr0
                                        ; implicit-def: $vgpr2_vgpr3_vgpr4_vgpr5
                                        ; implicit-def: $vgpr14_vgpr15_vgpr16_vgpr17
                                        ; implicit-def: $vgpr10_vgpr11_vgpr12_vgpr13
                                        ; implicit-def: $vgpr6_vgpr7_vgpr8_vgpr9
.LBB2_86:
	s_andn2_saveexec_b64 s[0:1], s[14:15]
	s_cbranch_execz .LBB2_92
; %bb.87:
	s_and_saveexec_b64 s[0:1], s[6:7]
	s_cbranch_execnz .LBB2_93
; %bb.88:
	s_or_b64 exec, exec, s[0:1]
	v_cmp_gt_i32_e32 vcc, s17, v18
	s_and_saveexec_b64 s[0:1], vcc
	s_cbranch_execnz .LBB2_94
.LBB2_89:
	s_or_b64 exec, exec, s[0:1]
	v_cmp_gt_i32_e32 vcc, s17, v1
	s_and_saveexec_b64 s[0:1], vcc
	s_cbranch_execnz .LBB2_95
.LBB2_90:
	s_or_b64 exec, exec, s[0:1]
	v_cmp_gt_i32_e32 vcc, s17, v0
	s_and_saveexec_b64 s[0:1], vcc
	s_cbranch_execz .LBB2_92
.LBB2_91:
	v_mad_i64_i32 v[0:1], s[0:1], s16, v0, 0
	v_ashrrev_i32_e32 v25, 31, v24
	v_lshl_add_u64 v[0:1], v[0:1], 2, s[2:3]
	v_lshl_add_u64 v[0:1], v[24:25], 2, v[0:1]
	global_store_dwordx4 v[0:1], v[6:9], off
.LBB2_92:
	s_endpgm
.LBB2_93:
	v_mad_i64_i32 v[20:21], s[4:5], s16, v19, 0
	v_ashrrev_i32_e32 v25, 31, v24
	v_lshl_add_u64 v[20:21], v[20:21], 2, s[2:3]
	v_lshl_add_u64 v[20:21], v[24:25], 2, v[20:21]
	global_store_dwordx4 v[20:21], v[2:5], off
	s_or_b64 exec, exec, s[0:1]
	v_cmp_gt_i32_e32 vcc, s17, v18
	s_and_saveexec_b64 s[0:1], vcc
	s_cbranch_execz .LBB2_89
.LBB2_94:
	v_mad_i64_i32 v[2:3], s[4:5], s16, v18, 0
	v_ashrrev_i32_e32 v25, 31, v24
	v_lshl_add_u64 v[2:3], v[2:3], 2, s[2:3]
	v_lshl_add_u64 v[2:3], v[24:25], 2, v[2:3]
	global_store_dwordx4 v[2:3], v[14:17], off
	s_or_b64 exec, exec, s[0:1]
	v_cmp_gt_i32_e32 vcc, s17, v1
	s_and_saveexec_b64 s[0:1], vcc
	s_cbranch_execz .LBB2_90
.LBB2_95:
	v_mad_i64_i32 v[2:3], s[4:5], s16, v1, 0
	v_ashrrev_i32_e32 v25, 31, v24
	v_lshl_add_u64 v[2:3], v[2:3], 2, s[2:3]
	v_lshl_add_u64 v[2:3], v[24:25], 2, v[2:3]
	global_store_dwordx4 v[2:3], v[10:13], off
	s_or_b64 exec, exec, s[0:1]
	v_cmp_gt_i32_e32 vcc, s17, v0
	s_and_saveexec_b64 s[0:1], vcc
	s_cbranch_execnz .LBB2_91
	s_branch .LBB2_92
.LBB2_96:
	v_ashrrev_i32_e32 v25, 31, v24
	v_lshl_add_u64 v[26:27], v[24:25], 2, v[22:23]
	global_store_dword v[26:27], v2, off nt
	s_or_b64 exec, exec, s[12:13]
	s_and_saveexec_b64 s[12:13], s[8:9]
	s_cbranch_execz .LBB2_70
.LBB2_97:
	v_ashrrev_i32_e32 v25, 31, v24
	v_lshl_add_u64 v[26:27], v[24:25], 2, v[20:21]
	global_store_dword v[26:27], v14, off nt
	s_or_b64 exec, exec, s[12:13]
	s_and_saveexec_b64 s[12:13], s[0:1]
	s_cbranch_execz .LBB2_71
.LBB2_98:
	v_ashrrev_i32_e32 v25, 31, v24
	v_lshl_add_u64 v[26:27], v[24:25], 2, v[18:19]
	global_store_dword v[26:27], v10, off nt
	s_or_b64 exec, exec, s[12:13]
	s_and_b64 exec, exec, s[4:5]
	s_cbranch_execnz .LBB2_72
	s_branch .LBB2_73
.LBB2_99:
	v_ashrrev_i32_e32 v25, 31, v24
	v_lshl_add_u64 v[26:27], v[24:25], 2, v[22:23]
	global_store_dword v[26:27], v3, off offset:4 nt
	s_or_b64 exec, exec, s[10:11]
	s_and_saveexec_b64 s[10:11], s[8:9]
	s_cbranch_execz .LBB2_76
.LBB2_100:
	v_ashrrev_i32_e32 v25, 31, v24
	v_lshl_add_u64 v[2:3], v[24:25], 2, v[20:21]
	global_store_dword v[2:3], v15, off offset:4 nt
	s_or_b64 exec, exec, s[10:11]
	s_and_saveexec_b64 s[10:11], s[0:1]
	s_cbranch_execz .LBB2_77
.LBB2_101:
	v_ashrrev_i32_e32 v25, 31, v24
	v_lshl_add_u64 v[2:3], v[24:25], 2, v[18:19]
	global_store_dword v[2:3], v11, off offset:4 nt
	s_or_b64 exec, exec, s[10:11]
	s_and_b64 exec, exec, s[4:5]
	s_cbranch_execnz .LBB2_78
	s_branch .LBB2_79
.LBB2_102:
	v_ashrrev_i32_e32 v25, 31, v24
	v_lshl_add_u64 v[2:3], v[24:25], 2, v[22:23]
	global_store_dword v[2:3], v4, off offset:8 nt
	s_or_b64 exec, exec, s[12:13]
	s_and_saveexec_b64 s[12:13], s[8:9]
	s_cbranch_execz .LBB2_82
.LBB2_103:
	v_ashrrev_i32_e32 v25, 31, v24
	v_lshl_add_u64 v[2:3], v[24:25], 2, v[20:21]
	global_store_dword v[2:3], v16, off offset:8 nt
	s_or_b64 exec, exec, s[12:13]
	s_and_saveexec_b64 s[8:9], s[0:1]
	s_cbranch_execz .LBB2_83
.LBB2_104:
	v_ashrrev_i32_e32 v25, 31, v24
	v_lshl_add_u64 v[2:3], v[24:25], 2, v[18:19]
	global_store_dword v[2:3], v12, off offset:8 nt
	s_or_b64 exec, exec, s[8:9]
	s_and_b64 exec, exec, s[4:5]
	s_cbranch_execnz .LBB2_84
	s_branch .LBB2_85
	.section	.rodata,"a",@progbits
	.p2align	6, 0x0
	.amdhsa_kernel _Z20gemm_bf16_f32_mfma_oPK14__hip_bfloat16PKfPfS1_iii
		.amdhsa_group_segment_fixed_size 17408
		.amdhsa_private_segment_fixed_size 0
		.amdhsa_kernarg_size 44
		.amdhsa_user_sgpr_count 2
		.amdhsa_user_sgpr_dispatch_ptr 0
		.amdhsa_user_sgpr_queue_ptr 0
		.amdhsa_user_sgpr_kernarg_segment_ptr 1
		.amdhsa_user_sgpr_dispatch_id 0
		.amdhsa_user_sgpr_kernarg_preload_length 0
		.amdhsa_user_sgpr_kernarg_preload_offset 0
		.amdhsa_user_sgpr_private_segment_size 0
		.amdhsa_uses_dynamic_stack 0
		.amdhsa_enable_private_segment 0
		.amdhsa_system_sgpr_workgroup_id_x 1
		.amdhsa_system_sgpr_workgroup_id_y 1
		.amdhsa_system_sgpr_workgroup_id_z 0
		.amdhsa_system_sgpr_workgroup_info 0
		.amdhsa_system_vgpr_workitem_id 0
		.amdhsa_next_free_vgpr 56
		.amdhsa_next_free_sgpr 36
		.amdhsa_accum_offset 56
		.amdhsa_reserve_vcc 1
		.amdhsa_float_round_mode_32 0
		.amdhsa_float_round_mode_16_64 0
		.amdhsa_float_denorm_mode_32 3
		.amdhsa_float_denorm_mode_16_64 3
		.amdhsa_dx10_clamp 1
		.amdhsa_ieee_mode 1
		.amdhsa_fp16_overflow 0
		.amdhsa_tg_split 0
		.amdhsa_exception_fp_ieee_invalid_op 0
		.amdhsa_exception_fp_denorm_src 0
		.amdhsa_exception_fp_ieee_div_zero 0
		.amdhsa_exception_fp_ieee_overflow 0
		.amdhsa_exception_fp_ieee_underflow 0
		.amdhsa_exception_fp_ieee_inexact 0
		.amdhsa_exception_int_div_zero 0
	.end_amdhsa_kernel
	.text
.Lfunc_end2:
	.size	_Z20gemm_bf16_f32_mfma_oPK14__hip_bfloat16PKfPfS1_iii, .Lfunc_end2-_Z20gemm_bf16_f32_mfma_oPK14__hip_bfloat16PKfPfS1_iii
                                        ; -- End function
	.set _Z20gemm_bf16_f32_mfma_oPK14__hip_bfloat16PKfPfS1_iii.num_vgpr, 56
	.set _Z20gemm_bf16_f32_mfma_oPK14__hip_bfloat16PKfPfS1_iii.num_agpr, 0
	.set _Z20gemm_bf16_f32_mfma_oPK14__hip_bfloat16PKfPfS1_iii.numbered_sgpr, 36
	.set _Z20gemm_bf16_f32_mfma_oPK14__hip_bfloat16PKfPfS1_iii.num_named_barrier, 0
	.set _Z20gemm_bf16_f32_mfma_oPK14__hip_bfloat16PKfPfS1_iii.private_seg_size, 0
	.set _Z20gemm_bf16_f32_mfma_oPK14__hip_bfloat16PKfPfS1_iii.uses_vcc, 1
	.set _Z20gemm_bf16_f32_mfma_oPK14__hip_bfloat16PKfPfS1_iii.uses_flat_scratch, 0
	.set _Z20gemm_bf16_f32_mfma_oPK14__hip_bfloat16PKfPfS1_iii.has_dyn_sized_stack, 0
	.set _Z20gemm_bf16_f32_mfma_oPK14__hip_bfloat16PKfPfS1_iii.has_recursion, 0
	.set _Z20gemm_bf16_f32_mfma_oPK14__hip_bfloat16PKfPfS1_iii.has_indirect_call, 0
	.section	.AMDGPU.csdata,"",@progbits
; Kernel info:
; codeLenInByte = 3028
; TotalNumSgprs: 42
; NumVgprs: 56
; NumAgprs: 0
; TotalNumVgprs: 56
; ScratchSize: 0
; MemoryBound: 0
; FloatMode: 240
; IeeeMode: 1
; LDSByteSize: 17408 bytes/workgroup (compile time only)
; SGPRBlocks: 5
; VGPRBlocks: 6
; NumSGPRsForWavesPerEU: 42
; NumVGPRsForWavesPerEU: 56
; AccumOffset: 56
; Occupancy: 8
; WaveLimiterHint : 0
; COMPUTE_PGM_RSRC2:SCRATCH_EN: 0
; COMPUTE_PGM_RSRC2:USER_SGPR: 2
; COMPUTE_PGM_RSRC2:TRAP_HANDLER: 0
; COMPUTE_PGM_RSRC2:TGID_X_EN: 1
; COMPUTE_PGM_RSRC2:TGID_Y_EN: 1
; COMPUTE_PGM_RSRC2:TGID_Z_EN: 0
; COMPUTE_PGM_RSRC2:TIDIG_COMP_CNT: 0
; COMPUTE_PGM_RSRC3_GFX90A:ACCUM_OFFSET: 13
; COMPUTE_PGM_RSRC3_GFX90A:TG_SPLIT: 0
	.text
	.protected	_Z22gemm_bf16_f32_mfma_qkvPK14__hip_bfloat16PKfPfS1_iii ; -- Begin function _Z22gemm_bf16_f32_mfma_qkvPK14__hip_bfloat16PKfPfS1_iii
	.globl	_Z22gemm_bf16_f32_mfma_qkvPK14__hip_bfloat16PKfPfS1_iii
	.p2align	8
	.type	_Z22gemm_bf16_f32_mfma_qkvPK14__hip_bfloat16PKfPfS1_iii,@function
_Z22gemm_bf16_f32_mfma_qkvPK14__hip_bfloat16PKfPfS1_iii: ; @_Z22gemm_bf16_f32_mfma_qkvPK14__hip_bfloat16PKfPfS1_iii
; %bb.0:
	s_load_dwordx2 s[8:9], s[0:1], 0x18
	s_load_dwordx4 s[16:19], s[0:1], 0x20
	v_lshrrev_b32_e32 v2, 2, v0
	s_lshl_b32 s20, s3, 8
	v_and_b32_e32 v1, 0xf0, v2
	v_or_b32_e32 v8, s20, v1
	v_and_b32_e32 v38, 12, v2
	v_or_b32_e32 v24, v8, v38
	v_mov_b32_e32 v2, 0
	s_waitcnt lgkmcnt(0)
	v_cmp_gt_i32_e64 s[12:13], s16, v24
	v_mov_b32_e32 v3, v2
	v_mov_b32_e32 v4, v2
	;; [unrolled: 1-line block ×3, first 2 shown]
	s_and_saveexec_b64 s[4:5], s[12:13]
	s_cbranch_execz .LBB3_2
; %bb.1:
	v_ashrrev_i32_e32 v25, 31, v24
	v_lshl_add_u64 v[4:5], v[24:25], 1, s[8:9]
	global_load_ushort v3, v[4:5], off
	v_mov_b32_e32 v5, v2
	v_mov_b32_e32 v6, v2
	;; [unrolled: 1-line block ×3, first 2 shown]
	s_waitcnt vmcnt(0)
	v_lshlrev_b32_e32 v4, 16, v3
	v_mov_b64_e32 v[2:3], v[4:5]
	v_mov_b64_e32 v[4:5], v[6:7]
.LBB3_2:
	s_or_b64 exec, exec, s[4:5]
	v_or_b32_e32 v6, 1, v24
	v_cmp_gt_i32_e64 s[10:11], s16, v6
	s_and_saveexec_b64 s[4:5], s[10:11]
	s_cbranch_execz .LBB3_4
; %bb.3:
	v_ashrrev_i32_e32 v25, 31, v24
	v_lshl_add_u64 v[6:7], v[24:25], 1, s[8:9]
	global_load_ushort v3, v[6:7], off offset:2
	s_waitcnt vmcnt(0)
	v_lshlrev_b32_e32 v3, 16, v3
.LBB3_4:
	s_or_b64 exec, exec, s[4:5]
	v_or_b32_e32 v6, 2, v24
	v_cmp_gt_i32_e32 vcc, s16, v6
	s_and_saveexec_b64 s[4:5], vcc
	s_cbranch_execz .LBB3_6
; %bb.5:
	v_ashrrev_i32_e32 v25, 31, v24
	v_lshl_add_u64 v[6:7], v[24:25], 1, s[8:9]
	global_load_ushort v4, v[6:7], off offset:4
	s_waitcnt vmcnt(0)
	v_lshlrev_b32_e32 v4, 16, v4
.LBB3_6:
	s_or_b64 exec, exec, s[4:5]
	v_or_b32_e32 v6, 3, v24
	v_cmp_le_i32_e64 s[4:5], s16, v6
	v_cmp_gt_i32_e64 s[6:7], s16, v6
	s_and_saveexec_b64 s[14:15], s[6:7]
	s_cbranch_execz .LBB3_8
; %bb.7:
	v_ashrrev_i32_e32 v25, 31, v24
	v_lshl_add_u64 v[6:7], v[24:25], 1, s[8:9]
	global_load_ushort v5, v[6:7], off offset:6
	s_waitcnt vmcnt(0)
	v_lshlrev_b32_e32 v5, 16, v5
.LBB3_8:
	s_or_b64 exec, exec, s[14:15]
	s_load_dwordx2 s[14:15], s[0:1], 0x8
	s_lshl_b32 s19, s2, 6
	v_lshrrev_b32_e32 v12, 4, v0
	v_lshlrev_b32_e32 v6, 2, v0
	v_and_b32_e32 v9, 60, v6
	v_or_b32_e32 v10, s19, v12
	v_cmp_gt_i32_e64 s[6:7], s17, v10
	v_cmp_gt_i32_e64 s[2:3], s18, v9
	v_mov_b32_e32 v6, 0
	s_and_b64 s[2:3], s[6:7], s[2:3]
	v_ashrrev_i32_e32 v11, 31, v10
	v_mov_b32_e32 v7, v6
	s_and_saveexec_b64 s[8:9], s[2:3]
	s_xor_b64 s[2:3], exec, s[8:9]
	s_cbranch_execz .LBB3_10
; %bb.9:
	v_mad_u64_u32 v[6:7], s[8:9], s18, v10, 0
	v_mov_b32_e32 v14, v7
	v_mad_u64_u32 v[14:15], s[8:9], s18, v11, v[14:15]
	v_mov_b32_e32 v7, v14
	s_waitcnt lgkmcnt(0)
	v_lshl_add_u64 v[6:7], v[6:7], 2, s[14:15]
	v_lshlrev_b32_e32 v14, 2, v9
	v_mov_b32_e32 v15, 0
	v_lshl_add_u64 v[6:7], v[6:7], 0, v[14:15]
	global_load_dwordx4 v[14:17], v[6:7], off
	s_mov_b32 s8, 0x5040100
	s_waitcnt vmcnt(0)
	v_cvt_pk_bf16_f32 v6, v14, s0
	v_cvt_pk_bf16_f32 v7, v15, v16
	;; [unrolled: 1-line block ×3, first 2 shown]
	v_perm_b32 v6, v7, v6, s8
	v_alignbit_b32 v7, v13, v7, 16
.LBB3_10:
	s_or_b64 exec, exec, s[2:3]
	s_load_dwordx2 s[2:3], s[0:1], 0x10
	v_lshlrev_b32_e32 v13, 1, v9
	s_movk_i32 s21, 0x88
	v_and_b32_e32 v25, 15, v0
	s_mov_b32 s28, 1
	v_mad_u32_u24 v39, v12, s21, v13
	s_cmp_lt_i32 s18, 1
	ds_write_b64 v39, v[6:7]
	s_waitcnt lgkmcnt(0)
	s_barrier
	s_cbranch_scc1 .LBB3_65
; %bb.11:
	s_add_i32 s8, s18, 63
	s_ashr_i32 s9, s8, 31
	s_lshr_b32 s9, s9, 26
	s_add_i32 s8, s8, s9
	s_ashr_i32 s29, s8, 6
	v_or_b32_e32 v6, v8, v25
	v_cmp_gt_i32_e64 s[8:9], s16, v6
	s_max_i32 s22, s29, 1
	v_lshlrev_b32_e32 v6, 1, v38
	v_mad_u32_u24 v40, v25, s21, v6
	s_lshl_b32 s30, s22, 6
	v_mad_u64_u32 v[6:7], s[22:23], v10, s18, 0
	v_mov_b32_e32 v8, v7
	v_mad_u64_u32 v[10:11], s[22:23], v11, s18, v[8:9]
	v_mov_b32_e32 v7, v10
	v_lshlrev_b32_e32 v10, 4, v25
	v_mov_b32_e32 v11, 0
	v_lshl_add_u64 v[6:7], v[6:7], 2, v[10:11]
	v_lshl_add_u64 v[6:7], s[14:15], 0, v[6:7]
	s_mov_b64 s[14:15], 0x100
	v_add3_u32 v1, s20, v1, v25
	s_load_dwordx2 s[0:1], s[0:1], 0x0
	v_lshl_add_u64 v[26:27], v[6:7], 0, s[14:15]
	v_mad_u64_u32 v[6:7], s[20:21], v1, s18, 0
	v_ashrrev_i32_e32 v10, 31, v1
	v_mov_b32_e32 v8, v7
	v_mad_u64_u32 v[12:13], s[20:21], v10, s18, v[8:9]
	v_lshrrev_b32_e32 v0, 1, v0
	v_mov_b32_e32 v7, v12
	v_and_b32_e32 v10, 24, v0
	v_lshl_add_u64 v[0:1], v[6:7], 1, v[10:11]
	s_waitcnt lgkmcnt(0)
	v_lshl_add_u64 v[0:1], s[0:1], 0, v[0:1]
	s_mov_b64 s[0:1], 0x64
	v_or_b32_e32 v41, 64, v9
	v_mov_b64_e32 v[16:17], v[4:5]
	v_mov_b64_e32 v[12:13], v[4:5]
	;; [unrolled: 1-line block ×3, first 2 shown]
	v_lshl_add_u64 v[28:29], v[0:1], 0, s[0:1]
	s_mov_b32 s31, 0
	s_mov_b32 s33, 0x5040100
	;; [unrolled: 1-line block ×3, first 2 shown]
	s_mov_b64 s[20:21], 0x80
	v_mov_b64_e32 v[14:15], v[2:3]
	v_mov_b64_e32 v[10:11], v[2:3]
	;; [unrolled: 1-line block ×3, first 2 shown]
	s_branch .LBB3_14
.LBB3_12:                               ;   in Loop: Header=BB3_14 Depth=1
	s_or_b64 exec, exec, s[0:1]
.LBB3_13:                               ;   in Loop: Header=BB3_14 Depth=1
	s_or_b64 exec, exec, s[22:23]
	ds_read2_b64 v[16:19], v43 offset0:8 offset1:12
	v_add_u32_e32 v20, 0x800, v43
	ds_read2_b64 v[20:23], v20 offset0:24 offset1:28
	s_add_i32 s31, s31, 64
	s_add_i32 s28, s28, 1
	s_waitcnt vmcnt(0) lgkmcnt(1)
	v_mfma_f32_16x16x16_bf16 v[12:15], v[34:35], v[16:17], v[12:15]
	v_add_u32_e32 v16, 0x1000, v43
	v_lshl_add_u64 v[26:27], v[26:27], 0, s[14:15]
	v_lshl_add_u64 v[28:29], v[28:29], 0, s[20:21]
	s_waitcnt lgkmcnt(0)
	v_mfma_f32_16x16x16_bf16 v[44:47], v[34:35], v[20:21], v[4:7]
	s_cmp_eq_u32 s30, s31
	s_nop 1
	ds_read2_b64 v[4:7], v16 offset0:40 offset1:44
	v_add_u32_e32 v16, 0x1800, v43
	ds_read2_b64 v[52:55], v16 offset0:56 offset1:60
	s_waitcnt lgkmcnt(1)
	v_mfma_f32_16x16x16_bf16 v[48:51], v[34:35], v[4:5], v[0:3]
	s_waitcnt lgkmcnt(0)
	s_barrier
	v_mfma_f32_16x16x16_bf16 v[34:37], v[34:35], v[52:53], v[8:11]
	v_mfma_f32_16x16x16_bf16 v[2:5], v[32:33], v[18:19], v[12:15]
	;; [unrolled: 1-line block ×5, first 2 shown]
	s_cbranch_scc1 .LBB3_66
.LBB3_14:                               ; =>This Inner Loop Header: Depth=1
	s_add_i32 s0, s28, -1
	s_and_b32 s35, s0, 1
	s_cmp_ge_i32 s28, s29
	s_cbranch_scc1 .LBB3_18
; %bb.15:                               ;   in Loop: Header=BB3_14 Depth=1
	v_add_u32_e32 v0, s31, v41
	v_cmp_gt_i32_e64 s[0:1], s18, v0
	s_and_b64 s[22:23], s[6:7], s[0:1]
	v_mov_b32_e32 v0, 0
	v_mov_b32_e32 v1, 0
	s_and_saveexec_b64 s[0:1], s[22:23]
	s_cbranch_execz .LBB3_17
; %bb.16:                               ;   in Loop: Header=BB3_14 Depth=1
	global_load_dwordx4 v[18:21], v[26:27], off
	s_waitcnt vmcnt(0)
	v_cvt_pk_bf16_f32 v0, v18, s0
	v_cvt_pk_bf16_f32 v1, v19, v20
	;; [unrolled: 1-line block ×3, first 2 shown]
	v_perm_b32 v0, v1, v0, s33
	v_alignbit_b32 v1, v18, v1, 16
.LBB3_17:                               ;   in Loop: Header=BB3_14 Depth=1
	s_or_b64 exec, exec, s[0:1]
	s_xor_b32 s0, s35, 1
	s_mulk_i32 s0, 0x2200
	v_add_u32_e32 v18, s0, v39
	ds_write_b64 v18, v[0:1]
.LBB3_18:                               ;   in Loop: Header=BB3_14 Depth=1
	v_add_u32_e32 v42, s31, v38
	v_mov_b32_e32 v30, 0
	v_mov_b32_e32 v36, 0
	;; [unrolled: 1-line block ×3, first 2 shown]
	s_and_saveexec_b64 s[22:23], s[8:9]
	s_cbranch_execz .LBB3_30
; %bb.19:                               ;   in Loop: Header=BB3_14 Depth=1
	v_add_u32_e32 v0, 3, v42
	v_cmp_le_i32_e64 s[0:1], s18, v0
                                        ; implicit-def: $vgpr37
	s_and_saveexec_b64 s[24:25], s[0:1]
	s_xor_b64 s[24:25], exec, s[24:25]
	s_cbranch_execz .LBB3_27
; %bb.20:                               ;   in Loop: Header=BB3_14 Depth=1
	v_cmp_gt_i32_e64 s[0:1], s18, v42
	v_mov_b32_e32 v37, 0
	v_mov_b32_e32 v36, 0
	s_and_saveexec_b64 s[26:27], s[0:1]
	s_cbranch_execz .LBB3_22
; %bb.21:                               ;   in Loop: Header=BB3_14 Depth=1
	global_load_ushort v0, v[28:29], off offset:-100
	s_waitcnt vmcnt(0)
	v_and_b32_e32 v36, 0xffff, v0
.LBB3_22:                               ;   in Loop: Header=BB3_14 Depth=1
	s_or_b64 exec, exec, s[26:27]
	v_add_u32_e32 v0, 1, v42
	v_cmp_gt_i32_e64 s[0:1], s18, v0
	s_and_saveexec_b64 s[26:27], s[0:1]
	s_cbranch_execz .LBB3_24
; %bb.23:                               ;   in Loop: Header=BB3_14 Depth=1
	global_load_ushort v0, v[28:29], off offset:-98
	s_waitcnt vmcnt(0)
	v_perm_b32 v36, v0, v36, s33
.LBB3_24:                               ;   in Loop: Header=BB3_14 Depth=1
	s_or_b64 exec, exec, s[26:27]
	v_add_u32_e32 v0, 2, v42
	v_cmp_gt_i32_e64 s[0:1], s18, v0
	s_and_saveexec_b64 s[26:27], s[0:1]
	s_cbranch_execz .LBB3_26
; %bb.25:                               ;   in Loop: Header=BB3_14 Depth=1
	global_load_ushort v0, v[28:29], off offset:-96
	s_waitcnt vmcnt(0)
	v_bfi_b32 v37, s34, v0, v37
.LBB3_26:                               ;   in Loop: Header=BB3_14 Depth=1
	s_or_b64 exec, exec, s[26:27]
.LBB3_27:                               ;   in Loop: Header=BB3_14 Depth=1
	s_andn2_saveexec_b64 s[0:1], s[24:25]
	s_cbranch_execz .LBB3_29
; %bb.28:                               ;   in Loop: Header=BB3_14 Depth=1
	global_load_dwordx2 v[36:37], v[28:29], off offset:-100
.LBB3_29:                               ;   in Loop: Header=BB3_14 Depth=1
	s_or_b64 exec, exec, s[0:1]
.LBB3_30:                               ;   in Loop: Header=BB3_14 Depth=1
	s_or_b64 exec, exec, s[22:23]
	v_mov_b32_e32 v31, 0
	s_and_saveexec_b64 s[22:23], s[8:9]
	s_cbranch_execz .LBB3_42
; %bb.31:                               ;   in Loop: Header=BB3_14 Depth=1
	v_add_u32_e32 v0, 19, v42
	v_cmp_le_i32_e64 s[0:1], s18, v0
                                        ; implicit-def: $vgpr31
	s_and_saveexec_b64 s[24:25], s[0:1]
	s_xor_b64 s[24:25], exec, s[24:25]
	s_cbranch_execz .LBB3_39
; %bb.32:                               ;   in Loop: Header=BB3_14 Depth=1
	v_add_u32_e32 v0, 16, v42
	v_cmp_gt_i32_e64 s[0:1], s18, v0
	v_mov_b32_e32 v31, 0
	v_mov_b32_e32 v30, 0
	s_and_saveexec_b64 s[26:27], s[0:1]
	s_cbranch_execz .LBB3_34
; %bb.33:                               ;   in Loop: Header=BB3_14 Depth=1
	global_load_ushort v0, v[28:29], off offset:-68
	s_waitcnt vmcnt(0)
	v_and_b32_e32 v30, 0xffff, v0
.LBB3_34:                               ;   in Loop: Header=BB3_14 Depth=1
	s_or_b64 exec, exec, s[26:27]
	v_add_u32_e32 v0, 17, v42
	v_cmp_gt_i32_e64 s[0:1], s18, v0
	s_and_saveexec_b64 s[26:27], s[0:1]
	s_cbranch_execz .LBB3_36
; %bb.35:                               ;   in Loop: Header=BB3_14 Depth=1
	global_load_ushort v0, v[28:29], off offset:-66
	s_waitcnt vmcnt(0)
	v_perm_b32 v30, v0, v30, s33
.LBB3_36:                               ;   in Loop: Header=BB3_14 Depth=1
	s_or_b64 exec, exec, s[26:27]
	v_add_u32_e32 v0, 18, v42
	v_cmp_gt_i32_e64 s[0:1], s18, v0
	s_and_saveexec_b64 s[26:27], s[0:1]
	s_cbranch_execz .LBB3_38
; %bb.37:                               ;   in Loop: Header=BB3_14 Depth=1
	global_load_ushort v0, v[28:29], off offset:-64
	s_waitcnt vmcnt(0)
	v_bfi_b32 v31, s34, v0, v31
.LBB3_38:                               ;   in Loop: Header=BB3_14 Depth=1
	s_or_b64 exec, exec, s[26:27]
.LBB3_39:                               ;   in Loop: Header=BB3_14 Depth=1
	s_andn2_saveexec_b64 s[0:1], s[24:25]
	s_cbranch_execz .LBB3_41
; %bb.40:                               ;   in Loop: Header=BB3_14 Depth=1
	global_load_dwordx2 v[30:31], v[28:29], off offset:-68
.LBB3_41:                               ;   in Loop: Header=BB3_14 Depth=1
	s_or_b64 exec, exec, s[0:1]
.LBB3_42:                               ;   in Loop: Header=BB3_14 Depth=1
	s_or_b64 exec, exec, s[22:23]
	s_mulk_i32 s35, 0x2200
	v_add_u32_e32 v43, s35, v40
	ds_read_b64 v[0:1], v43
	ds_read_b64 v[18:19], v43 offset:2176
	ds_read_b64 v[20:21], v43 offset:4352
	;; [unrolled: 1-line block ×3, first 2 shown]
	v_mov_b32_e32 v32, 0
	s_waitcnt vmcnt(0) lgkmcnt(3)
	v_mfma_f32_16x16x16_bf16 v[0:3], v[36:37], v[0:1], v[2:5]
	v_mov_b32_e32 v34, 0
	v_mov_b32_e32 v35, 0
	s_waitcnt lgkmcnt(2)
	v_mfma_f32_16x16x16_bf16 v[16:19], v[36:37], v[18:19], v[14:17]
	s_waitcnt lgkmcnt(1)
	v_mfma_f32_16x16x16_bf16 v[20:23], v[36:37], v[20:21], v[10:13]
	;; [unrolled: 2-line block ×3, first 2 shown]
	s_and_saveexec_b64 s[22:23], s[8:9]
	s_cbranch_execz .LBB3_54
; %bb.43:                               ;   in Loop: Header=BB3_14 Depth=1
	v_add_u32_e32 v4, 35, v42
	v_cmp_le_i32_e64 s[0:1], s18, v4
                                        ; implicit-def: $vgpr35
	s_and_saveexec_b64 s[24:25], s[0:1]
	s_xor_b64 s[24:25], exec, s[24:25]
	s_cbranch_execz .LBB3_51
; %bb.44:                               ;   in Loop: Header=BB3_14 Depth=1
	v_add_u32_e32 v4, 32, v42
	v_cmp_gt_i32_e64 s[0:1], s18, v4
	v_mov_b32_e32 v35, 0
	v_mov_b32_e32 v34, 0
	s_and_saveexec_b64 s[26:27], s[0:1]
	s_cbranch_execz .LBB3_46
; %bb.45:                               ;   in Loop: Header=BB3_14 Depth=1
	global_load_ushort v4, v[28:29], off offset:-36
	s_waitcnt vmcnt(0)
	v_and_b32_e32 v34, 0xffff, v4
.LBB3_46:                               ;   in Loop: Header=BB3_14 Depth=1
	s_or_b64 exec, exec, s[26:27]
	v_add_u32_e32 v4, 33, v42
	v_cmp_gt_i32_e64 s[0:1], s18, v4
	s_and_saveexec_b64 s[26:27], s[0:1]
	s_cbranch_execz .LBB3_48
; %bb.47:                               ;   in Loop: Header=BB3_14 Depth=1
	global_load_ushort v4, v[28:29], off offset:-34
	s_waitcnt vmcnt(0)
	v_perm_b32 v34, v4, v34, s33
.LBB3_48:                               ;   in Loop: Header=BB3_14 Depth=1
	s_or_b64 exec, exec, s[26:27]
	v_add_u32_e32 v4, 34, v42
	v_cmp_gt_i32_e64 s[0:1], s18, v4
	s_and_saveexec_b64 s[26:27], s[0:1]
	s_cbranch_execz .LBB3_50
; %bb.49:                               ;   in Loop: Header=BB3_14 Depth=1
	global_load_ushort v4, v[28:29], off offset:-32
	s_waitcnt vmcnt(0)
	v_bfi_b32 v35, s34, v4, v35
.LBB3_50:                               ;   in Loop: Header=BB3_14 Depth=1
	s_or_b64 exec, exec, s[26:27]
.LBB3_51:                               ;   in Loop: Header=BB3_14 Depth=1
	s_andn2_saveexec_b64 s[0:1], s[24:25]
	s_cbranch_execz .LBB3_53
; %bb.52:                               ;   in Loop: Header=BB3_14 Depth=1
	global_load_dwordx2 v[34:35], v[28:29], off offset:-36
.LBB3_53:                               ;   in Loop: Header=BB3_14 Depth=1
	s_or_b64 exec, exec, s[0:1]
.LBB3_54:                               ;   in Loop: Header=BB3_14 Depth=1
	s_or_b64 exec, exec, s[22:23]
	ds_read_b64 v[4:5], v43 offset:32
	ds_read_b64 v[6:7], v43 offset:2208
	;; [unrolled: 1-line block ×4, first 2 shown]
	v_mov_b32_e32 v33, 0
	s_waitcnt lgkmcnt(3)
	v_mfma_f32_16x16x16_bf16 v[12:15], v[30:31], v[4:5], v[0:3]
	s_waitcnt lgkmcnt(2)
	v_mfma_f32_16x16x16_bf16 v[4:7], v[30:31], v[6:7], v[16:19]
	;; [unrolled: 2-line block ×4, first 2 shown]
	s_and_saveexec_b64 s[22:23], s[8:9]
	s_cbranch_execz .LBB3_13
; %bb.55:                               ;   in Loop: Header=BB3_14 Depth=1
	v_add_u32_e32 v16, 51, v42
	v_cmp_le_i32_e64 s[0:1], s18, v16
                                        ; implicit-def: $vgpr33
	s_and_saveexec_b64 s[24:25], s[0:1]
	s_xor_b64 s[24:25], exec, s[24:25]
	s_cbranch_execz .LBB3_63
; %bb.56:                               ;   in Loop: Header=BB3_14 Depth=1
	v_add_u32_e32 v16, 48, v42
	v_cmp_gt_i32_e64 s[0:1], s18, v16
	v_mov_b32_e32 v33, 0
	v_mov_b32_e32 v32, 0
	s_and_saveexec_b64 s[26:27], s[0:1]
	s_cbranch_execz .LBB3_58
; %bb.57:                               ;   in Loop: Header=BB3_14 Depth=1
	global_load_ushort v16, v[28:29], off offset:-4
	s_waitcnt vmcnt(0)
	v_and_b32_e32 v32, 0xffff, v16
.LBB3_58:                               ;   in Loop: Header=BB3_14 Depth=1
	s_or_b64 exec, exec, s[26:27]
	v_add_u32_e32 v16, 49, v42
	v_cmp_gt_i32_e64 s[0:1], s18, v16
	s_and_saveexec_b64 s[26:27], s[0:1]
	s_cbranch_execz .LBB3_60
; %bb.59:                               ;   in Loop: Header=BB3_14 Depth=1
	global_load_ushort v16, v[28:29], off offset:-2
	s_waitcnt vmcnt(0)
	v_perm_b32 v32, v16, v32, s33
.LBB3_60:                               ;   in Loop: Header=BB3_14 Depth=1
	s_or_b64 exec, exec, s[26:27]
	v_add_u32_e32 v16, 50, v42
	v_cmp_gt_i32_e64 s[0:1], s18, v16
	s_and_saveexec_b64 s[26:27], s[0:1]
	s_cbranch_execz .LBB3_62
; %bb.61:                               ;   in Loop: Header=BB3_14 Depth=1
	global_load_ushort v16, v[28:29], off
	s_waitcnt vmcnt(0)
	v_bfi_b32 v33, s34, v16, v33
.LBB3_62:                               ;   in Loop: Header=BB3_14 Depth=1
	s_or_b64 exec, exec, s[26:27]
.LBB3_63:                               ;   in Loop: Header=BB3_14 Depth=1
	s_andn2_saveexec_b64 s[0:1], s[24:25]
	s_cbranch_execz .LBB3_12
; %bb.64:                               ;   in Loop: Header=BB3_14 Depth=1
	global_load_dwordx2 v[32:33], v[28:29], off offset:-4
	s_branch .LBB3_12
.LBB3_65:
	v_mov_b64_e32 v[16:17], v[4:5]
	v_mov_b64_e32 v[12:13], v[4:5]
	;; [unrolled: 1-line block ×6, first 2 shown]
.LBB3_66:
	v_or_b32_e32 v19, s19, v25
	v_or_b32_e32 v18, 16, v19
	;; [unrolled: 1-line block ×4, first 2 shown]
	v_cmp_gt_i32_e64 s[6:7], s17, v19
	s_and_saveexec_b64 s[0:1], s[4:5]
	s_xor_b64 s[14:15], exec, s[0:1]
	s_cbranch_execz .LBB3_86
; %bb.67:
	v_mad_i64_i32 v[20:21], s[0:1], s16, v19, 0
	v_cmp_gt_i32_e64 s[8:9], s17, v18
	v_mad_i64_i32 v[18:19], s[0:1], s16, v18, 0
	v_lshl_add_u64 v[22:23], v[20:21], 2, s[2:3]
	v_lshl_add_u64 v[20:21], v[18:19], 2, s[2:3]
	v_mad_i64_i32 v[18:19], s[4:5], s16, v1, 0
	v_cmp_gt_i32_e64 s[0:1], s17, v1
	v_cmp_gt_i32_e64 s[4:5], s17, v0
	v_mad_i64_i32 v[0:1], s[18:19], s16, v0, 0
	v_lshl_add_u64 v[18:19], v[18:19], 2, s[2:3]
	v_lshl_add_u64 v[0:1], v[0:1], 2, s[2:3]
	s_and_saveexec_b64 s[18:19], s[12:13]
	s_cbranch_execz .LBB3_73
; %bb.68:
	s_and_saveexec_b64 s[12:13], s[6:7]
	s_cbranch_execnz .LBB3_96
; %bb.69:
	s_or_b64 exec, exec, s[12:13]
	s_and_saveexec_b64 s[12:13], s[8:9]
	s_cbranch_execnz .LBB3_97
.LBB3_70:
	s_or_b64 exec, exec, s[12:13]
	s_and_saveexec_b64 s[12:13], s[0:1]
	s_cbranch_execnz .LBB3_98
.LBB3_71:
	s_or_b64 exec, exec, s[12:13]
	s_and_b64 exec, exec, s[4:5]
	s_cbranch_execz .LBB3_73
.LBB3_72:
	v_ashrrev_i32_e32 v25, 31, v24
	v_lshl_add_u64 v[26:27], v[24:25], 2, v[0:1]
	global_store_dword v[26:27], v6, off nt
.LBB3_73:
	s_or_b64 exec, exec, s[18:19]
	s_and_saveexec_b64 s[12:13], s[10:11]
	s_cbranch_execz .LBB3_79
; %bb.74:
	s_and_saveexec_b64 s[10:11], s[6:7]
	s_cbranch_execnz .LBB3_99
; %bb.75:
	s_or_b64 exec, exec, s[10:11]
	s_and_saveexec_b64 s[10:11], s[8:9]
	s_cbranch_execnz .LBB3_100
.LBB3_76:
	s_or_b64 exec, exec, s[10:11]
	s_and_saveexec_b64 s[10:11], s[0:1]
	s_cbranch_execnz .LBB3_101
.LBB3_77:
	s_or_b64 exec, exec, s[10:11]
	s_and_b64 exec, exec, s[4:5]
	s_cbranch_execz .LBB3_79
.LBB3_78:
	v_ashrrev_i32_e32 v25, 31, v24
	v_lshl_add_u64 v[2:3], v[24:25], 2, v[0:1]
	global_store_dword v[2:3], v7, off offset:4 nt
.LBB3_79:
	s_or_b64 exec, exec, s[12:13]
	s_and_saveexec_b64 s[10:11], vcc
	s_cbranch_execz .LBB3_85
; %bb.80:
	s_and_saveexec_b64 s[12:13], s[6:7]
	s_cbranch_execnz .LBB3_102
; %bb.81:
	s_or_b64 exec, exec, s[12:13]
	s_and_saveexec_b64 s[12:13], s[8:9]
	s_cbranch_execnz .LBB3_103
.LBB3_82:
	s_or_b64 exec, exec, s[12:13]
	s_and_saveexec_b64 s[8:9], s[0:1]
	s_cbranch_execnz .LBB3_104
.LBB3_83:
	s_or_b64 exec, exec, s[8:9]
	s_and_b64 exec, exec, s[4:5]
	s_cbranch_execz .LBB3_85
.LBB3_84:
	v_ashrrev_i32_e32 v25, 31, v24
	v_lshl_add_u64 v[0:1], v[24:25], 2, v[0:1]
	global_store_dword v[0:1], v8, off offset:8 nt
.LBB3_85:
	s_or_b64 exec, exec, s[10:11]
                                        ; implicit-def: $vgpr24
                                        ; implicit-def: $vgpr19
                                        ; implicit-def: $vgpr18
                                        ; implicit-def: $vgpr1
                                        ; implicit-def: $vgpr0
                                        ; implicit-def: $vgpr2_vgpr3_vgpr4_vgpr5
                                        ; implicit-def: $vgpr14_vgpr15_vgpr16_vgpr17
                                        ; implicit-def: $vgpr10_vgpr11_vgpr12_vgpr13
                                        ; implicit-def: $vgpr6_vgpr7_vgpr8_vgpr9
.LBB3_86:
	s_andn2_saveexec_b64 s[0:1], s[14:15]
	s_cbranch_execz .LBB3_92
; %bb.87:
	s_and_saveexec_b64 s[0:1], s[6:7]
	s_cbranch_execnz .LBB3_93
; %bb.88:
	s_or_b64 exec, exec, s[0:1]
	v_cmp_gt_i32_e32 vcc, s17, v18
	s_and_saveexec_b64 s[0:1], vcc
	s_cbranch_execnz .LBB3_94
.LBB3_89:
	s_or_b64 exec, exec, s[0:1]
	v_cmp_gt_i32_e32 vcc, s17, v1
	s_and_saveexec_b64 s[0:1], vcc
	s_cbranch_execnz .LBB3_95
.LBB3_90:
	s_or_b64 exec, exec, s[0:1]
	v_cmp_gt_i32_e32 vcc, s17, v0
	s_and_saveexec_b64 s[0:1], vcc
	s_cbranch_execz .LBB3_92
.LBB3_91:
	v_mad_i64_i32 v[0:1], s[0:1], s16, v0, 0
	v_ashrrev_i32_e32 v25, 31, v24
	v_lshl_add_u64 v[0:1], v[0:1], 2, s[2:3]
	v_lshl_add_u64 v[0:1], v[24:25], 2, v[0:1]
	global_store_dwordx4 v[0:1], v[6:9], off
.LBB3_92:
	s_endpgm
.LBB3_93:
	v_mad_i64_i32 v[20:21], s[4:5], s16, v19, 0
	v_ashrrev_i32_e32 v25, 31, v24
	v_lshl_add_u64 v[20:21], v[20:21], 2, s[2:3]
	v_lshl_add_u64 v[20:21], v[24:25], 2, v[20:21]
	global_store_dwordx4 v[20:21], v[2:5], off
	s_or_b64 exec, exec, s[0:1]
	v_cmp_gt_i32_e32 vcc, s17, v18
	s_and_saveexec_b64 s[0:1], vcc
	s_cbranch_execz .LBB3_89
.LBB3_94:
	v_mad_i64_i32 v[2:3], s[4:5], s16, v18, 0
	v_ashrrev_i32_e32 v25, 31, v24
	v_lshl_add_u64 v[2:3], v[2:3], 2, s[2:3]
	v_lshl_add_u64 v[2:3], v[24:25], 2, v[2:3]
	global_store_dwordx4 v[2:3], v[14:17], off
	s_or_b64 exec, exec, s[0:1]
	v_cmp_gt_i32_e32 vcc, s17, v1
	s_and_saveexec_b64 s[0:1], vcc
	s_cbranch_execz .LBB3_90
.LBB3_95:
	v_mad_i64_i32 v[2:3], s[4:5], s16, v1, 0
	v_ashrrev_i32_e32 v25, 31, v24
	v_lshl_add_u64 v[2:3], v[2:3], 2, s[2:3]
	v_lshl_add_u64 v[2:3], v[24:25], 2, v[2:3]
	global_store_dwordx4 v[2:3], v[10:13], off
	s_or_b64 exec, exec, s[0:1]
	v_cmp_gt_i32_e32 vcc, s17, v0
	s_and_saveexec_b64 s[0:1], vcc
	s_cbranch_execnz .LBB3_91
	s_branch .LBB3_92
.LBB3_96:
	v_ashrrev_i32_e32 v25, 31, v24
	v_lshl_add_u64 v[26:27], v[24:25], 2, v[22:23]
	global_store_dword v[26:27], v2, off nt
	s_or_b64 exec, exec, s[12:13]
	s_and_saveexec_b64 s[12:13], s[8:9]
	s_cbranch_execz .LBB3_70
.LBB3_97:
	v_ashrrev_i32_e32 v25, 31, v24
	v_lshl_add_u64 v[26:27], v[24:25], 2, v[20:21]
	global_store_dword v[26:27], v14, off nt
	s_or_b64 exec, exec, s[12:13]
	s_and_saveexec_b64 s[12:13], s[0:1]
	s_cbranch_execz .LBB3_71
.LBB3_98:
	v_ashrrev_i32_e32 v25, 31, v24
	v_lshl_add_u64 v[26:27], v[24:25], 2, v[18:19]
	global_store_dword v[26:27], v10, off nt
	s_or_b64 exec, exec, s[12:13]
	s_and_b64 exec, exec, s[4:5]
	s_cbranch_execnz .LBB3_72
	s_branch .LBB3_73
.LBB3_99:
	v_ashrrev_i32_e32 v25, 31, v24
	v_lshl_add_u64 v[26:27], v[24:25], 2, v[22:23]
	global_store_dword v[26:27], v3, off offset:4 nt
	s_or_b64 exec, exec, s[10:11]
	s_and_saveexec_b64 s[10:11], s[8:9]
	s_cbranch_execz .LBB3_76
.LBB3_100:
	v_ashrrev_i32_e32 v25, 31, v24
	v_lshl_add_u64 v[2:3], v[24:25], 2, v[20:21]
	global_store_dword v[2:3], v15, off offset:4 nt
	s_or_b64 exec, exec, s[10:11]
	s_and_saveexec_b64 s[10:11], s[0:1]
	s_cbranch_execz .LBB3_77
.LBB3_101:
	v_ashrrev_i32_e32 v25, 31, v24
	v_lshl_add_u64 v[2:3], v[24:25], 2, v[18:19]
	global_store_dword v[2:3], v11, off offset:4 nt
	s_or_b64 exec, exec, s[10:11]
	s_and_b64 exec, exec, s[4:5]
	s_cbranch_execnz .LBB3_78
	s_branch .LBB3_79
.LBB3_102:
	v_ashrrev_i32_e32 v25, 31, v24
	v_lshl_add_u64 v[2:3], v[24:25], 2, v[22:23]
	global_store_dword v[2:3], v4, off offset:8 nt
	s_or_b64 exec, exec, s[12:13]
	s_and_saveexec_b64 s[12:13], s[8:9]
	s_cbranch_execz .LBB3_82
.LBB3_103:
	v_ashrrev_i32_e32 v25, 31, v24
	v_lshl_add_u64 v[2:3], v[24:25], 2, v[20:21]
	global_store_dword v[2:3], v16, off offset:8 nt
	s_or_b64 exec, exec, s[12:13]
	s_and_saveexec_b64 s[8:9], s[0:1]
	s_cbranch_execz .LBB3_83
.LBB3_104:
	v_ashrrev_i32_e32 v25, 31, v24
	v_lshl_add_u64 v[2:3], v[24:25], 2, v[18:19]
	global_store_dword v[2:3], v12, off offset:8 nt
	s_or_b64 exec, exec, s[8:9]
	s_and_b64 exec, exec, s[4:5]
	s_cbranch_execnz .LBB3_84
	s_branch .LBB3_85
	.section	.rodata,"a",@progbits
	.p2align	6, 0x0
	.amdhsa_kernel _Z22gemm_bf16_f32_mfma_qkvPK14__hip_bfloat16PKfPfS1_iii
		.amdhsa_group_segment_fixed_size 17408
		.amdhsa_private_segment_fixed_size 0
		.amdhsa_kernarg_size 44
		.amdhsa_user_sgpr_count 2
		.amdhsa_user_sgpr_dispatch_ptr 0
		.amdhsa_user_sgpr_queue_ptr 0
		.amdhsa_user_sgpr_kernarg_segment_ptr 1
		.amdhsa_user_sgpr_dispatch_id 0
		.amdhsa_user_sgpr_kernarg_preload_length 0
		.amdhsa_user_sgpr_kernarg_preload_offset 0
		.amdhsa_user_sgpr_private_segment_size 0
		.amdhsa_uses_dynamic_stack 0
		.amdhsa_enable_private_segment 0
		.amdhsa_system_sgpr_workgroup_id_x 1
		.amdhsa_system_sgpr_workgroup_id_y 1
		.amdhsa_system_sgpr_workgroup_id_z 0
		.amdhsa_system_sgpr_workgroup_info 0
		.amdhsa_system_vgpr_workitem_id 0
		.amdhsa_next_free_vgpr 56
		.amdhsa_next_free_sgpr 36
		.amdhsa_accum_offset 56
		.amdhsa_reserve_vcc 1
		.amdhsa_float_round_mode_32 0
		.amdhsa_float_round_mode_16_64 0
		.amdhsa_float_denorm_mode_32 3
		.amdhsa_float_denorm_mode_16_64 3
		.amdhsa_dx10_clamp 1
		.amdhsa_ieee_mode 1
		.amdhsa_fp16_overflow 0
		.amdhsa_tg_split 0
		.amdhsa_exception_fp_ieee_invalid_op 0
		.amdhsa_exception_fp_denorm_src 0
		.amdhsa_exception_fp_ieee_div_zero 0
		.amdhsa_exception_fp_ieee_overflow 0
		.amdhsa_exception_fp_ieee_underflow 0
		.amdhsa_exception_fp_ieee_inexact 0
		.amdhsa_exception_int_div_zero 0
	.end_amdhsa_kernel
	.text
.Lfunc_end3:
	.size	_Z22gemm_bf16_f32_mfma_qkvPK14__hip_bfloat16PKfPfS1_iii, .Lfunc_end3-_Z22gemm_bf16_f32_mfma_qkvPK14__hip_bfloat16PKfPfS1_iii
                                        ; -- End function
	.set _Z22gemm_bf16_f32_mfma_qkvPK14__hip_bfloat16PKfPfS1_iii.num_vgpr, 56
	.set _Z22gemm_bf16_f32_mfma_qkvPK14__hip_bfloat16PKfPfS1_iii.num_agpr, 0
	.set _Z22gemm_bf16_f32_mfma_qkvPK14__hip_bfloat16PKfPfS1_iii.numbered_sgpr, 36
	.set _Z22gemm_bf16_f32_mfma_qkvPK14__hip_bfloat16PKfPfS1_iii.num_named_barrier, 0
	.set _Z22gemm_bf16_f32_mfma_qkvPK14__hip_bfloat16PKfPfS1_iii.private_seg_size, 0
	.set _Z22gemm_bf16_f32_mfma_qkvPK14__hip_bfloat16PKfPfS1_iii.uses_vcc, 1
	.set _Z22gemm_bf16_f32_mfma_qkvPK14__hip_bfloat16PKfPfS1_iii.uses_flat_scratch, 0
	.set _Z22gemm_bf16_f32_mfma_qkvPK14__hip_bfloat16PKfPfS1_iii.has_dyn_sized_stack, 0
	.set _Z22gemm_bf16_f32_mfma_qkvPK14__hip_bfloat16PKfPfS1_iii.has_recursion, 0
	.set _Z22gemm_bf16_f32_mfma_qkvPK14__hip_bfloat16PKfPfS1_iii.has_indirect_call, 0
	.section	.AMDGPU.csdata,"",@progbits
; Kernel info:
; codeLenInByte = 3028
; TotalNumSgprs: 42
; NumVgprs: 56
; NumAgprs: 0
; TotalNumVgprs: 56
; ScratchSize: 0
; MemoryBound: 0
; FloatMode: 240
; IeeeMode: 1
; LDSByteSize: 17408 bytes/workgroup (compile time only)
; SGPRBlocks: 5
; VGPRBlocks: 6
; NumSGPRsForWavesPerEU: 42
; NumVGPRsForWavesPerEU: 56
; AccumOffset: 56
; Occupancy: 8
; WaveLimiterHint : 0
; COMPUTE_PGM_RSRC2:SCRATCH_EN: 0
; COMPUTE_PGM_RSRC2:USER_SGPR: 2
; COMPUTE_PGM_RSRC2:TRAP_HANDLER: 0
; COMPUTE_PGM_RSRC2:TGID_X_EN: 1
; COMPUTE_PGM_RSRC2:TGID_Y_EN: 1
; COMPUTE_PGM_RSRC2:TGID_Z_EN: 0
; COMPUTE_PGM_RSRC2:TIDIG_COMP_CNT: 0
; COMPUTE_PGM_RSRC3_GFX90A:ACCUM_OFFSET: 13
; COMPUTE_PGM_RSRC3_GFX90A:TG_SPLIT: 0
	.text
	.protected	_Z25gemm_bf16_f32_mfma_routerPK14__hip_bfloat16PKfPfS1_iii ; -- Begin function _Z25gemm_bf16_f32_mfma_routerPK14__hip_bfloat16PKfPfS1_iii
	.globl	_Z25gemm_bf16_f32_mfma_routerPK14__hip_bfloat16PKfPfS1_iii
	.p2align	8
	.type	_Z25gemm_bf16_f32_mfma_routerPK14__hip_bfloat16PKfPfS1_iii,@function
_Z25gemm_bf16_f32_mfma_routerPK14__hip_bfloat16PKfPfS1_iii: ; @_Z25gemm_bf16_f32_mfma_routerPK14__hip_bfloat16PKfPfS1_iii
; %bb.0:
	s_load_dwordx2 s[8:9], s[0:1], 0x18
	s_load_dwordx4 s[16:19], s[0:1], 0x20
	v_lshrrev_b32_e32 v2, 2, v0
	s_lshl_b32 s20, s3, 8
	v_and_b32_e32 v1, 0xf0, v2
	v_or_b32_e32 v8, s20, v1
	v_and_b32_e32 v38, 12, v2
	v_or_b32_e32 v24, v8, v38
	v_mov_b32_e32 v2, 0
	s_waitcnt lgkmcnt(0)
	v_cmp_gt_i32_e64 s[12:13], s16, v24
	v_mov_b32_e32 v3, v2
	v_mov_b32_e32 v4, v2
	;; [unrolled: 1-line block ×3, first 2 shown]
	s_and_saveexec_b64 s[4:5], s[12:13]
	s_cbranch_execz .LBB4_2
; %bb.1:
	v_ashrrev_i32_e32 v25, 31, v24
	v_lshl_add_u64 v[4:5], v[24:25], 1, s[8:9]
	global_load_ushort v3, v[4:5], off
	v_mov_b32_e32 v5, v2
	v_mov_b32_e32 v6, v2
	;; [unrolled: 1-line block ×3, first 2 shown]
	s_waitcnt vmcnt(0)
	v_lshlrev_b32_e32 v4, 16, v3
	v_mov_b64_e32 v[2:3], v[4:5]
	v_mov_b64_e32 v[4:5], v[6:7]
.LBB4_2:
	s_or_b64 exec, exec, s[4:5]
	v_or_b32_e32 v6, 1, v24
	v_cmp_gt_i32_e64 s[10:11], s16, v6
	s_and_saveexec_b64 s[4:5], s[10:11]
	s_cbranch_execz .LBB4_4
; %bb.3:
	v_ashrrev_i32_e32 v25, 31, v24
	v_lshl_add_u64 v[6:7], v[24:25], 1, s[8:9]
	global_load_ushort v3, v[6:7], off offset:2
	s_waitcnt vmcnt(0)
	v_lshlrev_b32_e32 v3, 16, v3
.LBB4_4:
	s_or_b64 exec, exec, s[4:5]
	v_or_b32_e32 v6, 2, v24
	v_cmp_gt_i32_e32 vcc, s16, v6
	s_and_saveexec_b64 s[4:5], vcc
	s_cbranch_execz .LBB4_6
; %bb.5:
	v_ashrrev_i32_e32 v25, 31, v24
	v_lshl_add_u64 v[6:7], v[24:25], 1, s[8:9]
	global_load_ushort v4, v[6:7], off offset:4
	s_waitcnt vmcnt(0)
	v_lshlrev_b32_e32 v4, 16, v4
.LBB4_6:
	s_or_b64 exec, exec, s[4:5]
	v_or_b32_e32 v6, 3, v24
	v_cmp_le_i32_e64 s[4:5], s16, v6
	v_cmp_gt_i32_e64 s[6:7], s16, v6
	s_and_saveexec_b64 s[14:15], s[6:7]
	s_cbranch_execz .LBB4_8
; %bb.7:
	v_ashrrev_i32_e32 v25, 31, v24
	v_lshl_add_u64 v[6:7], v[24:25], 1, s[8:9]
	global_load_ushort v5, v[6:7], off offset:6
	s_waitcnt vmcnt(0)
	v_lshlrev_b32_e32 v5, 16, v5
.LBB4_8:
	s_or_b64 exec, exec, s[14:15]
	s_load_dwordx2 s[14:15], s[0:1], 0x8
	s_lshl_b32 s19, s2, 6
	v_lshrrev_b32_e32 v12, 4, v0
	v_lshlrev_b32_e32 v6, 2, v0
	v_and_b32_e32 v9, 60, v6
	v_or_b32_e32 v10, s19, v12
	v_cmp_gt_i32_e64 s[6:7], s17, v10
	v_cmp_gt_i32_e64 s[2:3], s18, v9
	v_mov_b32_e32 v6, 0
	s_and_b64 s[2:3], s[6:7], s[2:3]
	v_ashrrev_i32_e32 v11, 31, v10
	v_mov_b32_e32 v7, v6
	s_and_saveexec_b64 s[8:9], s[2:3]
	s_xor_b64 s[2:3], exec, s[8:9]
	s_cbranch_execz .LBB4_10
; %bb.9:
	v_mad_u64_u32 v[6:7], s[8:9], s18, v10, 0
	v_mov_b32_e32 v14, v7
	v_mad_u64_u32 v[14:15], s[8:9], s18, v11, v[14:15]
	v_mov_b32_e32 v7, v14
	s_waitcnt lgkmcnt(0)
	v_lshl_add_u64 v[6:7], v[6:7], 2, s[14:15]
	v_lshlrev_b32_e32 v14, 2, v9
	v_mov_b32_e32 v15, 0
	v_lshl_add_u64 v[6:7], v[6:7], 0, v[14:15]
	global_load_dwordx4 v[14:17], v[6:7], off
	s_mov_b32 s8, 0x5040100
	s_waitcnt vmcnt(0)
	v_cvt_pk_bf16_f32 v6, v14, s0
	v_cvt_pk_bf16_f32 v7, v15, v16
	;; [unrolled: 1-line block ×3, first 2 shown]
	v_perm_b32 v6, v7, v6, s8
	v_alignbit_b32 v7, v13, v7, 16
.LBB4_10:
	s_or_b64 exec, exec, s[2:3]
	s_load_dwordx2 s[2:3], s[0:1], 0x10
	v_lshlrev_b32_e32 v13, 1, v9
	s_movk_i32 s21, 0x88
	v_and_b32_e32 v25, 15, v0
	s_mov_b32 s28, 1
	v_mad_u32_u24 v39, v12, s21, v13
	s_cmp_lt_i32 s18, 1
	ds_write_b64 v39, v[6:7]
	s_waitcnt lgkmcnt(0)
	s_barrier
	s_cbranch_scc1 .LBB4_65
; %bb.11:
	s_add_i32 s8, s18, 63
	s_ashr_i32 s9, s8, 31
	s_lshr_b32 s9, s9, 26
	s_add_i32 s8, s8, s9
	s_ashr_i32 s29, s8, 6
	v_or_b32_e32 v6, v8, v25
	v_cmp_gt_i32_e64 s[8:9], s16, v6
	s_max_i32 s22, s29, 1
	v_lshlrev_b32_e32 v6, 1, v38
	v_mad_u32_u24 v40, v25, s21, v6
	s_lshl_b32 s30, s22, 6
	v_mad_u64_u32 v[6:7], s[22:23], v10, s18, 0
	v_mov_b32_e32 v8, v7
	v_mad_u64_u32 v[10:11], s[22:23], v11, s18, v[8:9]
	v_mov_b32_e32 v7, v10
	v_lshlrev_b32_e32 v10, 4, v25
	v_mov_b32_e32 v11, 0
	v_lshl_add_u64 v[6:7], v[6:7], 2, v[10:11]
	v_lshl_add_u64 v[6:7], s[14:15], 0, v[6:7]
	s_mov_b64 s[14:15], 0x100
	v_add3_u32 v1, s20, v1, v25
	s_load_dwordx2 s[0:1], s[0:1], 0x0
	v_lshl_add_u64 v[26:27], v[6:7], 0, s[14:15]
	v_mad_u64_u32 v[6:7], s[20:21], v1, s18, 0
	v_ashrrev_i32_e32 v10, 31, v1
	v_mov_b32_e32 v8, v7
	v_mad_u64_u32 v[12:13], s[20:21], v10, s18, v[8:9]
	v_lshrrev_b32_e32 v0, 1, v0
	v_mov_b32_e32 v7, v12
	v_and_b32_e32 v10, 24, v0
	v_lshl_add_u64 v[0:1], v[6:7], 1, v[10:11]
	s_waitcnt lgkmcnt(0)
	v_lshl_add_u64 v[0:1], s[0:1], 0, v[0:1]
	s_mov_b64 s[0:1], 0x64
	v_or_b32_e32 v41, 64, v9
	v_mov_b64_e32 v[16:17], v[4:5]
	v_mov_b64_e32 v[12:13], v[4:5]
	;; [unrolled: 1-line block ×3, first 2 shown]
	v_lshl_add_u64 v[28:29], v[0:1], 0, s[0:1]
	s_mov_b32 s31, 0
	s_mov_b32 s33, 0x5040100
	;; [unrolled: 1-line block ×3, first 2 shown]
	s_mov_b64 s[20:21], 0x80
	v_mov_b64_e32 v[14:15], v[2:3]
	v_mov_b64_e32 v[10:11], v[2:3]
	;; [unrolled: 1-line block ×3, first 2 shown]
	s_branch .LBB4_14
.LBB4_12:                               ;   in Loop: Header=BB4_14 Depth=1
	s_or_b64 exec, exec, s[0:1]
.LBB4_13:                               ;   in Loop: Header=BB4_14 Depth=1
	s_or_b64 exec, exec, s[22:23]
	ds_read2_b64 v[16:19], v43 offset0:8 offset1:12
	v_add_u32_e32 v20, 0x800, v43
	ds_read2_b64 v[20:23], v20 offset0:24 offset1:28
	s_add_i32 s31, s31, 64
	s_add_i32 s28, s28, 1
	s_waitcnt vmcnt(0) lgkmcnt(1)
	v_mfma_f32_16x16x16_bf16 v[12:15], v[34:35], v[16:17], v[12:15]
	v_add_u32_e32 v16, 0x1000, v43
	v_lshl_add_u64 v[26:27], v[26:27], 0, s[14:15]
	v_lshl_add_u64 v[28:29], v[28:29], 0, s[20:21]
	s_waitcnt lgkmcnt(0)
	v_mfma_f32_16x16x16_bf16 v[44:47], v[34:35], v[20:21], v[4:7]
	s_cmp_eq_u32 s30, s31
	s_nop 1
	ds_read2_b64 v[4:7], v16 offset0:40 offset1:44
	v_add_u32_e32 v16, 0x1800, v43
	ds_read2_b64 v[52:55], v16 offset0:56 offset1:60
	s_waitcnt lgkmcnt(1)
	v_mfma_f32_16x16x16_bf16 v[48:51], v[34:35], v[4:5], v[0:3]
	s_waitcnt lgkmcnt(0)
	s_barrier
	v_mfma_f32_16x16x16_bf16 v[34:37], v[34:35], v[52:53], v[8:11]
	v_mfma_f32_16x16x16_bf16 v[2:5], v[32:33], v[18:19], v[12:15]
	;; [unrolled: 1-line block ×5, first 2 shown]
	s_cbranch_scc1 .LBB4_66
.LBB4_14:                               ; =>This Inner Loop Header: Depth=1
	s_add_i32 s0, s28, -1
	s_and_b32 s35, s0, 1
	s_cmp_ge_i32 s28, s29
	s_cbranch_scc1 .LBB4_18
; %bb.15:                               ;   in Loop: Header=BB4_14 Depth=1
	v_add_u32_e32 v0, s31, v41
	v_cmp_gt_i32_e64 s[0:1], s18, v0
	s_and_b64 s[22:23], s[6:7], s[0:1]
	v_mov_b32_e32 v0, 0
	v_mov_b32_e32 v1, 0
	s_and_saveexec_b64 s[0:1], s[22:23]
	s_cbranch_execz .LBB4_17
; %bb.16:                               ;   in Loop: Header=BB4_14 Depth=1
	global_load_dwordx4 v[18:21], v[26:27], off
	s_waitcnt vmcnt(0)
	v_cvt_pk_bf16_f32 v0, v18, s0
	v_cvt_pk_bf16_f32 v1, v19, v20
	;; [unrolled: 1-line block ×3, first 2 shown]
	v_perm_b32 v0, v1, v0, s33
	v_alignbit_b32 v1, v18, v1, 16
.LBB4_17:                               ;   in Loop: Header=BB4_14 Depth=1
	s_or_b64 exec, exec, s[0:1]
	s_xor_b32 s0, s35, 1
	s_mulk_i32 s0, 0x2200
	v_add_u32_e32 v18, s0, v39
	ds_write_b64 v18, v[0:1]
.LBB4_18:                               ;   in Loop: Header=BB4_14 Depth=1
	v_add_u32_e32 v42, s31, v38
	v_mov_b32_e32 v30, 0
	v_mov_b32_e32 v36, 0
	;; [unrolled: 1-line block ×3, first 2 shown]
	s_and_saveexec_b64 s[22:23], s[8:9]
	s_cbranch_execz .LBB4_30
; %bb.19:                               ;   in Loop: Header=BB4_14 Depth=1
	v_add_u32_e32 v0, 3, v42
	v_cmp_le_i32_e64 s[0:1], s18, v0
                                        ; implicit-def: $vgpr37
	s_and_saveexec_b64 s[24:25], s[0:1]
	s_xor_b64 s[24:25], exec, s[24:25]
	s_cbranch_execz .LBB4_27
; %bb.20:                               ;   in Loop: Header=BB4_14 Depth=1
	v_cmp_gt_i32_e64 s[0:1], s18, v42
	v_mov_b32_e32 v37, 0
	v_mov_b32_e32 v36, 0
	s_and_saveexec_b64 s[26:27], s[0:1]
	s_cbranch_execz .LBB4_22
; %bb.21:                               ;   in Loop: Header=BB4_14 Depth=1
	global_load_ushort v0, v[28:29], off offset:-100
	s_waitcnt vmcnt(0)
	v_and_b32_e32 v36, 0xffff, v0
.LBB4_22:                               ;   in Loop: Header=BB4_14 Depth=1
	s_or_b64 exec, exec, s[26:27]
	v_add_u32_e32 v0, 1, v42
	v_cmp_gt_i32_e64 s[0:1], s18, v0
	s_and_saveexec_b64 s[26:27], s[0:1]
	s_cbranch_execz .LBB4_24
; %bb.23:                               ;   in Loop: Header=BB4_14 Depth=1
	global_load_ushort v0, v[28:29], off offset:-98
	s_waitcnt vmcnt(0)
	v_perm_b32 v36, v0, v36, s33
.LBB4_24:                               ;   in Loop: Header=BB4_14 Depth=1
	s_or_b64 exec, exec, s[26:27]
	v_add_u32_e32 v0, 2, v42
	v_cmp_gt_i32_e64 s[0:1], s18, v0
	s_and_saveexec_b64 s[26:27], s[0:1]
	s_cbranch_execz .LBB4_26
; %bb.25:                               ;   in Loop: Header=BB4_14 Depth=1
	global_load_ushort v0, v[28:29], off offset:-96
	s_waitcnt vmcnt(0)
	v_bfi_b32 v37, s34, v0, v37
.LBB4_26:                               ;   in Loop: Header=BB4_14 Depth=1
	s_or_b64 exec, exec, s[26:27]
.LBB4_27:                               ;   in Loop: Header=BB4_14 Depth=1
	s_andn2_saveexec_b64 s[0:1], s[24:25]
	s_cbranch_execz .LBB4_29
; %bb.28:                               ;   in Loop: Header=BB4_14 Depth=1
	global_load_dwordx2 v[36:37], v[28:29], off offset:-100
.LBB4_29:                               ;   in Loop: Header=BB4_14 Depth=1
	s_or_b64 exec, exec, s[0:1]
.LBB4_30:                               ;   in Loop: Header=BB4_14 Depth=1
	s_or_b64 exec, exec, s[22:23]
	v_mov_b32_e32 v31, 0
	s_and_saveexec_b64 s[22:23], s[8:9]
	s_cbranch_execz .LBB4_42
; %bb.31:                               ;   in Loop: Header=BB4_14 Depth=1
	v_add_u32_e32 v0, 19, v42
	v_cmp_le_i32_e64 s[0:1], s18, v0
                                        ; implicit-def: $vgpr31
	s_and_saveexec_b64 s[24:25], s[0:1]
	s_xor_b64 s[24:25], exec, s[24:25]
	s_cbranch_execz .LBB4_39
; %bb.32:                               ;   in Loop: Header=BB4_14 Depth=1
	v_add_u32_e32 v0, 16, v42
	v_cmp_gt_i32_e64 s[0:1], s18, v0
	v_mov_b32_e32 v31, 0
	v_mov_b32_e32 v30, 0
	s_and_saveexec_b64 s[26:27], s[0:1]
	s_cbranch_execz .LBB4_34
; %bb.33:                               ;   in Loop: Header=BB4_14 Depth=1
	global_load_ushort v0, v[28:29], off offset:-68
	s_waitcnt vmcnt(0)
	v_and_b32_e32 v30, 0xffff, v0
.LBB4_34:                               ;   in Loop: Header=BB4_14 Depth=1
	s_or_b64 exec, exec, s[26:27]
	v_add_u32_e32 v0, 17, v42
	v_cmp_gt_i32_e64 s[0:1], s18, v0
	s_and_saveexec_b64 s[26:27], s[0:1]
	s_cbranch_execz .LBB4_36
; %bb.35:                               ;   in Loop: Header=BB4_14 Depth=1
	global_load_ushort v0, v[28:29], off offset:-66
	s_waitcnt vmcnt(0)
	v_perm_b32 v30, v0, v30, s33
.LBB4_36:                               ;   in Loop: Header=BB4_14 Depth=1
	s_or_b64 exec, exec, s[26:27]
	v_add_u32_e32 v0, 18, v42
	v_cmp_gt_i32_e64 s[0:1], s18, v0
	s_and_saveexec_b64 s[26:27], s[0:1]
	s_cbranch_execz .LBB4_38
; %bb.37:                               ;   in Loop: Header=BB4_14 Depth=1
	global_load_ushort v0, v[28:29], off offset:-64
	s_waitcnt vmcnt(0)
	v_bfi_b32 v31, s34, v0, v31
.LBB4_38:                               ;   in Loop: Header=BB4_14 Depth=1
	s_or_b64 exec, exec, s[26:27]
.LBB4_39:                               ;   in Loop: Header=BB4_14 Depth=1
	s_andn2_saveexec_b64 s[0:1], s[24:25]
	s_cbranch_execz .LBB4_41
; %bb.40:                               ;   in Loop: Header=BB4_14 Depth=1
	global_load_dwordx2 v[30:31], v[28:29], off offset:-68
.LBB4_41:                               ;   in Loop: Header=BB4_14 Depth=1
	s_or_b64 exec, exec, s[0:1]
.LBB4_42:                               ;   in Loop: Header=BB4_14 Depth=1
	s_or_b64 exec, exec, s[22:23]
	s_mulk_i32 s35, 0x2200
	v_add_u32_e32 v43, s35, v40
	ds_read_b64 v[0:1], v43
	ds_read_b64 v[18:19], v43 offset:2176
	ds_read_b64 v[20:21], v43 offset:4352
	;; [unrolled: 1-line block ×3, first 2 shown]
	v_mov_b32_e32 v32, 0
	s_waitcnt vmcnt(0) lgkmcnt(3)
	v_mfma_f32_16x16x16_bf16 v[0:3], v[36:37], v[0:1], v[2:5]
	v_mov_b32_e32 v34, 0
	v_mov_b32_e32 v35, 0
	s_waitcnt lgkmcnt(2)
	v_mfma_f32_16x16x16_bf16 v[16:19], v[36:37], v[18:19], v[14:17]
	s_waitcnt lgkmcnt(1)
	v_mfma_f32_16x16x16_bf16 v[20:23], v[36:37], v[20:21], v[10:13]
	;; [unrolled: 2-line block ×3, first 2 shown]
	s_and_saveexec_b64 s[22:23], s[8:9]
	s_cbranch_execz .LBB4_54
; %bb.43:                               ;   in Loop: Header=BB4_14 Depth=1
	v_add_u32_e32 v4, 35, v42
	v_cmp_le_i32_e64 s[0:1], s18, v4
                                        ; implicit-def: $vgpr35
	s_and_saveexec_b64 s[24:25], s[0:1]
	s_xor_b64 s[24:25], exec, s[24:25]
	s_cbranch_execz .LBB4_51
; %bb.44:                               ;   in Loop: Header=BB4_14 Depth=1
	v_add_u32_e32 v4, 32, v42
	v_cmp_gt_i32_e64 s[0:1], s18, v4
	v_mov_b32_e32 v35, 0
	v_mov_b32_e32 v34, 0
	s_and_saveexec_b64 s[26:27], s[0:1]
	s_cbranch_execz .LBB4_46
; %bb.45:                               ;   in Loop: Header=BB4_14 Depth=1
	global_load_ushort v4, v[28:29], off offset:-36
	s_waitcnt vmcnt(0)
	v_and_b32_e32 v34, 0xffff, v4
.LBB4_46:                               ;   in Loop: Header=BB4_14 Depth=1
	s_or_b64 exec, exec, s[26:27]
	v_add_u32_e32 v4, 33, v42
	v_cmp_gt_i32_e64 s[0:1], s18, v4
	s_and_saveexec_b64 s[26:27], s[0:1]
	s_cbranch_execz .LBB4_48
; %bb.47:                               ;   in Loop: Header=BB4_14 Depth=1
	global_load_ushort v4, v[28:29], off offset:-34
	s_waitcnt vmcnt(0)
	v_perm_b32 v34, v4, v34, s33
.LBB4_48:                               ;   in Loop: Header=BB4_14 Depth=1
	s_or_b64 exec, exec, s[26:27]
	v_add_u32_e32 v4, 34, v42
	v_cmp_gt_i32_e64 s[0:1], s18, v4
	s_and_saveexec_b64 s[26:27], s[0:1]
	s_cbranch_execz .LBB4_50
; %bb.49:                               ;   in Loop: Header=BB4_14 Depth=1
	global_load_ushort v4, v[28:29], off offset:-32
	s_waitcnt vmcnt(0)
	v_bfi_b32 v35, s34, v4, v35
.LBB4_50:                               ;   in Loop: Header=BB4_14 Depth=1
	s_or_b64 exec, exec, s[26:27]
.LBB4_51:                               ;   in Loop: Header=BB4_14 Depth=1
	s_andn2_saveexec_b64 s[0:1], s[24:25]
	s_cbranch_execz .LBB4_53
; %bb.52:                               ;   in Loop: Header=BB4_14 Depth=1
	global_load_dwordx2 v[34:35], v[28:29], off offset:-36
.LBB4_53:                               ;   in Loop: Header=BB4_14 Depth=1
	s_or_b64 exec, exec, s[0:1]
.LBB4_54:                               ;   in Loop: Header=BB4_14 Depth=1
	s_or_b64 exec, exec, s[22:23]
	ds_read_b64 v[4:5], v43 offset:32
	ds_read_b64 v[6:7], v43 offset:2208
	;; [unrolled: 1-line block ×4, first 2 shown]
	v_mov_b32_e32 v33, 0
	s_waitcnt lgkmcnt(3)
	v_mfma_f32_16x16x16_bf16 v[12:15], v[30:31], v[4:5], v[0:3]
	s_waitcnt lgkmcnt(2)
	v_mfma_f32_16x16x16_bf16 v[4:7], v[30:31], v[6:7], v[16:19]
	s_waitcnt lgkmcnt(1)
	v_mfma_f32_16x16x16_bf16 v[0:3], v[30:31], v[36:37], v[20:23]
	s_waitcnt lgkmcnt(0)
	v_mfma_f32_16x16x16_bf16 v[8:11], v[30:31], v[44:45], v[8:11]
	s_and_saveexec_b64 s[22:23], s[8:9]
	s_cbranch_execz .LBB4_13
; %bb.55:                               ;   in Loop: Header=BB4_14 Depth=1
	v_add_u32_e32 v16, 51, v42
	v_cmp_le_i32_e64 s[0:1], s18, v16
                                        ; implicit-def: $vgpr33
	s_and_saveexec_b64 s[24:25], s[0:1]
	s_xor_b64 s[24:25], exec, s[24:25]
	s_cbranch_execz .LBB4_63
; %bb.56:                               ;   in Loop: Header=BB4_14 Depth=1
	v_add_u32_e32 v16, 48, v42
	v_cmp_gt_i32_e64 s[0:1], s18, v16
	v_mov_b32_e32 v33, 0
	v_mov_b32_e32 v32, 0
	s_and_saveexec_b64 s[26:27], s[0:1]
	s_cbranch_execz .LBB4_58
; %bb.57:                               ;   in Loop: Header=BB4_14 Depth=1
	global_load_ushort v16, v[28:29], off offset:-4
	s_waitcnt vmcnt(0)
	v_and_b32_e32 v32, 0xffff, v16
.LBB4_58:                               ;   in Loop: Header=BB4_14 Depth=1
	s_or_b64 exec, exec, s[26:27]
	v_add_u32_e32 v16, 49, v42
	v_cmp_gt_i32_e64 s[0:1], s18, v16
	s_and_saveexec_b64 s[26:27], s[0:1]
	s_cbranch_execz .LBB4_60
; %bb.59:                               ;   in Loop: Header=BB4_14 Depth=1
	global_load_ushort v16, v[28:29], off offset:-2
	s_waitcnt vmcnt(0)
	v_perm_b32 v32, v16, v32, s33
.LBB4_60:                               ;   in Loop: Header=BB4_14 Depth=1
	s_or_b64 exec, exec, s[26:27]
	v_add_u32_e32 v16, 50, v42
	v_cmp_gt_i32_e64 s[0:1], s18, v16
	s_and_saveexec_b64 s[26:27], s[0:1]
	s_cbranch_execz .LBB4_62
; %bb.61:                               ;   in Loop: Header=BB4_14 Depth=1
	global_load_ushort v16, v[28:29], off
	s_waitcnt vmcnt(0)
	v_bfi_b32 v33, s34, v16, v33
.LBB4_62:                               ;   in Loop: Header=BB4_14 Depth=1
	s_or_b64 exec, exec, s[26:27]
.LBB4_63:                               ;   in Loop: Header=BB4_14 Depth=1
	s_andn2_saveexec_b64 s[0:1], s[24:25]
	s_cbranch_execz .LBB4_12
; %bb.64:                               ;   in Loop: Header=BB4_14 Depth=1
	global_load_dwordx2 v[32:33], v[28:29], off offset:-4
	s_branch .LBB4_12
.LBB4_65:
	v_mov_b64_e32 v[16:17], v[4:5]
	v_mov_b64_e32 v[12:13], v[4:5]
	;; [unrolled: 1-line block ×6, first 2 shown]
.LBB4_66:
	v_or_b32_e32 v19, s19, v25
	v_or_b32_e32 v18, 16, v19
	;; [unrolled: 1-line block ×4, first 2 shown]
	v_cmp_gt_i32_e64 s[6:7], s17, v19
	s_and_saveexec_b64 s[0:1], s[4:5]
	s_xor_b64 s[14:15], exec, s[0:1]
	s_cbranch_execz .LBB4_86
; %bb.67:
	v_mad_i64_i32 v[20:21], s[0:1], s16, v19, 0
	v_cmp_gt_i32_e64 s[8:9], s17, v18
	v_mad_i64_i32 v[18:19], s[0:1], s16, v18, 0
	v_lshl_add_u64 v[22:23], v[20:21], 2, s[2:3]
	v_lshl_add_u64 v[20:21], v[18:19], 2, s[2:3]
	v_mad_i64_i32 v[18:19], s[4:5], s16, v1, 0
	v_cmp_gt_i32_e64 s[0:1], s17, v1
	v_cmp_gt_i32_e64 s[4:5], s17, v0
	v_mad_i64_i32 v[0:1], s[18:19], s16, v0, 0
	v_lshl_add_u64 v[18:19], v[18:19], 2, s[2:3]
	v_lshl_add_u64 v[0:1], v[0:1], 2, s[2:3]
	s_and_saveexec_b64 s[18:19], s[12:13]
	s_cbranch_execz .LBB4_73
; %bb.68:
	s_and_saveexec_b64 s[12:13], s[6:7]
	s_cbranch_execnz .LBB4_96
; %bb.69:
	s_or_b64 exec, exec, s[12:13]
	s_and_saveexec_b64 s[12:13], s[8:9]
	s_cbranch_execnz .LBB4_97
.LBB4_70:
	s_or_b64 exec, exec, s[12:13]
	s_and_saveexec_b64 s[12:13], s[0:1]
	s_cbranch_execnz .LBB4_98
.LBB4_71:
	s_or_b64 exec, exec, s[12:13]
	s_and_b64 exec, exec, s[4:5]
	s_cbranch_execz .LBB4_73
.LBB4_72:
	v_ashrrev_i32_e32 v25, 31, v24
	v_lshl_add_u64 v[26:27], v[24:25], 2, v[0:1]
	global_store_dword v[26:27], v6, off nt
.LBB4_73:
	s_or_b64 exec, exec, s[18:19]
	s_and_saveexec_b64 s[12:13], s[10:11]
	s_cbranch_execz .LBB4_79
; %bb.74:
	s_and_saveexec_b64 s[10:11], s[6:7]
	s_cbranch_execnz .LBB4_99
; %bb.75:
	s_or_b64 exec, exec, s[10:11]
	s_and_saveexec_b64 s[10:11], s[8:9]
	s_cbranch_execnz .LBB4_100
.LBB4_76:
	s_or_b64 exec, exec, s[10:11]
	s_and_saveexec_b64 s[10:11], s[0:1]
	s_cbranch_execnz .LBB4_101
.LBB4_77:
	s_or_b64 exec, exec, s[10:11]
	s_and_b64 exec, exec, s[4:5]
	s_cbranch_execz .LBB4_79
.LBB4_78:
	v_ashrrev_i32_e32 v25, 31, v24
	v_lshl_add_u64 v[2:3], v[24:25], 2, v[0:1]
	global_store_dword v[2:3], v7, off offset:4 nt
.LBB4_79:
	s_or_b64 exec, exec, s[12:13]
	s_and_saveexec_b64 s[10:11], vcc
	s_cbranch_execz .LBB4_85
; %bb.80:
	s_and_saveexec_b64 s[12:13], s[6:7]
	s_cbranch_execnz .LBB4_102
; %bb.81:
	s_or_b64 exec, exec, s[12:13]
	s_and_saveexec_b64 s[12:13], s[8:9]
	s_cbranch_execnz .LBB4_103
.LBB4_82:
	s_or_b64 exec, exec, s[12:13]
	s_and_saveexec_b64 s[8:9], s[0:1]
	s_cbranch_execnz .LBB4_104
.LBB4_83:
	s_or_b64 exec, exec, s[8:9]
	s_and_b64 exec, exec, s[4:5]
	s_cbranch_execz .LBB4_85
.LBB4_84:
	v_ashrrev_i32_e32 v25, 31, v24
	v_lshl_add_u64 v[0:1], v[24:25], 2, v[0:1]
	global_store_dword v[0:1], v8, off offset:8 nt
.LBB4_85:
	s_or_b64 exec, exec, s[10:11]
                                        ; implicit-def: $vgpr24
                                        ; implicit-def: $vgpr19
                                        ; implicit-def: $vgpr18
                                        ; implicit-def: $vgpr1
                                        ; implicit-def: $vgpr0
                                        ; implicit-def: $vgpr2_vgpr3_vgpr4_vgpr5
                                        ; implicit-def: $vgpr14_vgpr15_vgpr16_vgpr17
                                        ; implicit-def: $vgpr10_vgpr11_vgpr12_vgpr13
                                        ; implicit-def: $vgpr6_vgpr7_vgpr8_vgpr9
.LBB4_86:
	s_andn2_saveexec_b64 s[0:1], s[14:15]
	s_cbranch_execz .LBB4_92
; %bb.87:
	s_and_saveexec_b64 s[0:1], s[6:7]
	s_cbranch_execnz .LBB4_93
; %bb.88:
	s_or_b64 exec, exec, s[0:1]
	v_cmp_gt_i32_e32 vcc, s17, v18
	s_and_saveexec_b64 s[0:1], vcc
	s_cbranch_execnz .LBB4_94
.LBB4_89:
	s_or_b64 exec, exec, s[0:1]
	v_cmp_gt_i32_e32 vcc, s17, v1
	s_and_saveexec_b64 s[0:1], vcc
	s_cbranch_execnz .LBB4_95
.LBB4_90:
	s_or_b64 exec, exec, s[0:1]
	v_cmp_gt_i32_e32 vcc, s17, v0
	s_and_saveexec_b64 s[0:1], vcc
	s_cbranch_execz .LBB4_92
.LBB4_91:
	v_mad_i64_i32 v[0:1], s[0:1], s16, v0, 0
	v_ashrrev_i32_e32 v25, 31, v24
	v_lshl_add_u64 v[0:1], v[0:1], 2, s[2:3]
	v_lshl_add_u64 v[0:1], v[24:25], 2, v[0:1]
	global_store_dwordx4 v[0:1], v[6:9], off
.LBB4_92:
	s_endpgm
.LBB4_93:
	v_mad_i64_i32 v[20:21], s[4:5], s16, v19, 0
	v_ashrrev_i32_e32 v25, 31, v24
	v_lshl_add_u64 v[20:21], v[20:21], 2, s[2:3]
	v_lshl_add_u64 v[20:21], v[24:25], 2, v[20:21]
	global_store_dwordx4 v[20:21], v[2:5], off
	s_or_b64 exec, exec, s[0:1]
	v_cmp_gt_i32_e32 vcc, s17, v18
	s_and_saveexec_b64 s[0:1], vcc
	s_cbranch_execz .LBB4_89
.LBB4_94:
	v_mad_i64_i32 v[2:3], s[4:5], s16, v18, 0
	v_ashrrev_i32_e32 v25, 31, v24
	v_lshl_add_u64 v[2:3], v[2:3], 2, s[2:3]
	v_lshl_add_u64 v[2:3], v[24:25], 2, v[2:3]
	global_store_dwordx4 v[2:3], v[14:17], off
	s_or_b64 exec, exec, s[0:1]
	v_cmp_gt_i32_e32 vcc, s17, v1
	s_and_saveexec_b64 s[0:1], vcc
	s_cbranch_execz .LBB4_90
.LBB4_95:
	v_mad_i64_i32 v[2:3], s[4:5], s16, v1, 0
	v_ashrrev_i32_e32 v25, 31, v24
	v_lshl_add_u64 v[2:3], v[2:3], 2, s[2:3]
	v_lshl_add_u64 v[2:3], v[24:25], 2, v[2:3]
	global_store_dwordx4 v[2:3], v[10:13], off
	s_or_b64 exec, exec, s[0:1]
	v_cmp_gt_i32_e32 vcc, s17, v0
	s_and_saveexec_b64 s[0:1], vcc
	s_cbranch_execnz .LBB4_91
	s_branch .LBB4_92
.LBB4_96:
	v_ashrrev_i32_e32 v25, 31, v24
	v_lshl_add_u64 v[26:27], v[24:25], 2, v[22:23]
	global_store_dword v[26:27], v2, off nt
	s_or_b64 exec, exec, s[12:13]
	s_and_saveexec_b64 s[12:13], s[8:9]
	s_cbranch_execz .LBB4_70
.LBB4_97:
	v_ashrrev_i32_e32 v25, 31, v24
	v_lshl_add_u64 v[26:27], v[24:25], 2, v[20:21]
	global_store_dword v[26:27], v14, off nt
	s_or_b64 exec, exec, s[12:13]
	s_and_saveexec_b64 s[12:13], s[0:1]
	s_cbranch_execz .LBB4_71
.LBB4_98:
	v_ashrrev_i32_e32 v25, 31, v24
	v_lshl_add_u64 v[26:27], v[24:25], 2, v[18:19]
	global_store_dword v[26:27], v10, off nt
	s_or_b64 exec, exec, s[12:13]
	s_and_b64 exec, exec, s[4:5]
	s_cbranch_execnz .LBB4_72
	s_branch .LBB4_73
.LBB4_99:
	v_ashrrev_i32_e32 v25, 31, v24
	v_lshl_add_u64 v[26:27], v[24:25], 2, v[22:23]
	global_store_dword v[26:27], v3, off offset:4 nt
	s_or_b64 exec, exec, s[10:11]
	s_and_saveexec_b64 s[10:11], s[8:9]
	s_cbranch_execz .LBB4_76
.LBB4_100:
	v_ashrrev_i32_e32 v25, 31, v24
	v_lshl_add_u64 v[2:3], v[24:25], 2, v[20:21]
	global_store_dword v[2:3], v15, off offset:4 nt
	s_or_b64 exec, exec, s[10:11]
	s_and_saveexec_b64 s[10:11], s[0:1]
	s_cbranch_execz .LBB4_77
.LBB4_101:
	v_ashrrev_i32_e32 v25, 31, v24
	v_lshl_add_u64 v[2:3], v[24:25], 2, v[18:19]
	global_store_dword v[2:3], v11, off offset:4 nt
	s_or_b64 exec, exec, s[10:11]
	s_and_b64 exec, exec, s[4:5]
	s_cbranch_execnz .LBB4_78
	s_branch .LBB4_79
.LBB4_102:
	v_ashrrev_i32_e32 v25, 31, v24
	v_lshl_add_u64 v[2:3], v[24:25], 2, v[22:23]
	global_store_dword v[2:3], v4, off offset:8 nt
	s_or_b64 exec, exec, s[12:13]
	s_and_saveexec_b64 s[12:13], s[8:9]
	s_cbranch_execz .LBB4_82
.LBB4_103:
	v_ashrrev_i32_e32 v25, 31, v24
	v_lshl_add_u64 v[2:3], v[24:25], 2, v[20:21]
	global_store_dword v[2:3], v16, off offset:8 nt
	s_or_b64 exec, exec, s[12:13]
	s_and_saveexec_b64 s[8:9], s[0:1]
	s_cbranch_execz .LBB4_83
.LBB4_104:
	v_ashrrev_i32_e32 v25, 31, v24
	v_lshl_add_u64 v[2:3], v[24:25], 2, v[18:19]
	global_store_dword v[2:3], v12, off offset:8 nt
	s_or_b64 exec, exec, s[8:9]
	s_and_b64 exec, exec, s[4:5]
	s_cbranch_execnz .LBB4_84
	s_branch .LBB4_85
	.section	.rodata,"a",@progbits
	.p2align	6, 0x0
	.amdhsa_kernel _Z25gemm_bf16_f32_mfma_routerPK14__hip_bfloat16PKfPfS1_iii
		.amdhsa_group_segment_fixed_size 17408
		.amdhsa_private_segment_fixed_size 0
		.amdhsa_kernarg_size 44
		.amdhsa_user_sgpr_count 2
		.amdhsa_user_sgpr_dispatch_ptr 0
		.amdhsa_user_sgpr_queue_ptr 0
		.amdhsa_user_sgpr_kernarg_segment_ptr 1
		.amdhsa_user_sgpr_dispatch_id 0
		.amdhsa_user_sgpr_kernarg_preload_length 0
		.amdhsa_user_sgpr_kernarg_preload_offset 0
		.amdhsa_user_sgpr_private_segment_size 0
		.amdhsa_uses_dynamic_stack 0
		.amdhsa_enable_private_segment 0
		.amdhsa_system_sgpr_workgroup_id_x 1
		.amdhsa_system_sgpr_workgroup_id_y 1
		.amdhsa_system_sgpr_workgroup_id_z 0
		.amdhsa_system_sgpr_workgroup_info 0
		.amdhsa_system_vgpr_workitem_id 0
		.amdhsa_next_free_vgpr 56
		.amdhsa_next_free_sgpr 36
		.amdhsa_accum_offset 56
		.amdhsa_reserve_vcc 1
		.amdhsa_float_round_mode_32 0
		.amdhsa_float_round_mode_16_64 0
		.amdhsa_float_denorm_mode_32 3
		.amdhsa_float_denorm_mode_16_64 3
		.amdhsa_dx10_clamp 1
		.amdhsa_ieee_mode 1
		.amdhsa_fp16_overflow 0
		.amdhsa_tg_split 0
		.amdhsa_exception_fp_ieee_invalid_op 0
		.amdhsa_exception_fp_denorm_src 0
		.amdhsa_exception_fp_ieee_div_zero 0
		.amdhsa_exception_fp_ieee_overflow 0
		.amdhsa_exception_fp_ieee_underflow 0
		.amdhsa_exception_fp_ieee_inexact 0
		.amdhsa_exception_int_div_zero 0
	.end_amdhsa_kernel
	.text
.Lfunc_end4:
	.size	_Z25gemm_bf16_f32_mfma_routerPK14__hip_bfloat16PKfPfS1_iii, .Lfunc_end4-_Z25gemm_bf16_f32_mfma_routerPK14__hip_bfloat16PKfPfS1_iii
                                        ; -- End function
	.set _Z25gemm_bf16_f32_mfma_routerPK14__hip_bfloat16PKfPfS1_iii.num_vgpr, 56
	.set _Z25gemm_bf16_f32_mfma_routerPK14__hip_bfloat16PKfPfS1_iii.num_agpr, 0
	.set _Z25gemm_bf16_f32_mfma_routerPK14__hip_bfloat16PKfPfS1_iii.numbered_sgpr, 36
	.set _Z25gemm_bf16_f32_mfma_routerPK14__hip_bfloat16PKfPfS1_iii.num_named_barrier, 0
	.set _Z25gemm_bf16_f32_mfma_routerPK14__hip_bfloat16PKfPfS1_iii.private_seg_size, 0
	.set _Z25gemm_bf16_f32_mfma_routerPK14__hip_bfloat16PKfPfS1_iii.uses_vcc, 1
	.set _Z25gemm_bf16_f32_mfma_routerPK14__hip_bfloat16PKfPfS1_iii.uses_flat_scratch, 0
	.set _Z25gemm_bf16_f32_mfma_routerPK14__hip_bfloat16PKfPfS1_iii.has_dyn_sized_stack, 0
	.set _Z25gemm_bf16_f32_mfma_routerPK14__hip_bfloat16PKfPfS1_iii.has_recursion, 0
	.set _Z25gemm_bf16_f32_mfma_routerPK14__hip_bfloat16PKfPfS1_iii.has_indirect_call, 0
	.section	.AMDGPU.csdata,"",@progbits
; Kernel info:
; codeLenInByte = 3028
; TotalNumSgprs: 42
; NumVgprs: 56
; NumAgprs: 0
; TotalNumVgprs: 56
; ScratchSize: 0
; MemoryBound: 0
; FloatMode: 240
; IeeeMode: 1
; LDSByteSize: 17408 bytes/workgroup (compile time only)
; SGPRBlocks: 5
; VGPRBlocks: 6
; NumSGPRsForWavesPerEU: 42
; NumVGPRsForWavesPerEU: 56
; AccumOffset: 56
; Occupancy: 8
; WaveLimiterHint : 0
; COMPUTE_PGM_RSRC2:SCRATCH_EN: 0
; COMPUTE_PGM_RSRC2:USER_SGPR: 2
; COMPUTE_PGM_RSRC2:TRAP_HANDLER: 0
; COMPUTE_PGM_RSRC2:TGID_X_EN: 1
; COMPUTE_PGM_RSRC2:TGID_Y_EN: 1
; COMPUTE_PGM_RSRC2:TGID_Z_EN: 0
; COMPUTE_PGM_RSRC2:TIDIG_COMP_CNT: 0
; COMPUTE_PGM_RSRC3_GFX90A:ACCUM_OFFSET: 13
; COMPUTE_PGM_RSRC3_GFX90A:TG_SPLIT: 0
	.text
	.protected	_Z27moe_mlp1_swiglu_mfma_kernelPKiiiPKfPfPK14__hip_bfloat16S6_iixxff ; -- Begin function _Z27moe_mlp1_swiglu_mfma_kernelPKiiiPKfPfPK14__hip_bfloat16S6_iixxff
	.globl	_Z27moe_mlp1_swiglu_mfma_kernelPKiiiPKfPfPK14__hip_bfloat16S6_iixxff
	.p2align	8
	.type	_Z27moe_mlp1_swiglu_mfma_kernelPKiiiPKfPfPK14__hip_bfloat16S6_iixxff,@function
_Z27moe_mlp1_swiglu_mfma_kernelPKiiiPKfPfPK14__hip_bfloat16S6_iixxff: ; @_Z27moe_mlp1_swiglu_mfma_kernelPKiiiPKfPfPK14__hip_bfloat16S6_iixxff
; %bb.0:
	s_load_dwordx2 s[6:7], s[0:1], 0x8
	s_waitcnt lgkmcnt(0)
	s_cmp_ge_i32 s4, s7
	s_cbranch_scc1 .LBB5_103
; %bb.1:
	s_load_dwordx2 s[8:9], s[0:1], 0x0
	s_load_dwordx2 s[18:19], s[0:1], 0x30
	s_add_i32 s4, s6, s4
	s_mul_i32 s4, s4, 3
	s_ashr_i32 s5, s4, 31
	s_lshl_b64 s[4:5], s[4:5], 2
	s_waitcnt lgkmcnt(0)
	s_add_u32 s6, s8, s4
	s_addc_u32 s7, s9, s5
	s_load_dwordx2 s[28:29], s[6:7], 0x4
	s_cmp_eq_u32 s19, 0
	s_cselect_b64 s[4:5], -1, 0
	s_waitcnt lgkmcnt(0)
	s_cmp_eq_u32 s29, 0
	s_cselect_b64 s[8:9], -1, 0
	s_or_b64 s[4:5], s[4:5], s[8:9]
	s_cmp_eq_u32 s18, 0
	s_cselect_b64 s[8:9], -1, 0
	s_or_b64 s[4:5], s[8:9], s[4:5]
	s_and_b64 vcc, exec, s[4:5]
	s_cbranch_vccnz .LBB5_103
; %bb.2:
	s_load_dword s38, s[6:7], 0x0
	s_load_dwordx2 s[4:5], s[0:1], 0x28
	s_load_dwordx4 s[20:23], s[0:1], 0x38
	s_mov_b64 s[10:11], 0
	s_waitcnt lgkmcnt(0)
	s_ashr_i32 s39, s38, 31
	s_cmp_eq_u64 s[4:5], 0
	s_cbranch_scc1 .LBB5_4
; %bb.3:
	s_mul_i32 s6, s22, s39
	s_mul_hi_u32 s7, s22, s38
	s_add_i32 s6, s7, s6
	s_mul_i32 s7, s23, s38
	s_add_i32 s7, s6, s7
	s_mul_i32 s6, s22, s38
	s_lshl_b64 s[6:7], s[6:7], 1
	s_add_u32 s10, s4, s6
	s_addc_u32 s11, s5, s7
.LBB5_4:
	s_lshl_b32 s30, s19, 1
	s_lshl_b32 s40, s3, 8
	s_cmp_lt_i32 s40, s30
	s_cselect_b64 s[4:5], -1, 0
	s_lshl_b32 s41, s2, 6
	s_cmp_lt_i32 s41, s29
	s_cselect_b64 s[6:7], -1, 0
	s_and_b64 s[4:5], s[4:5], s[6:7]
	s_andn2_b64 vcc, exec, s[4:5]
	s_cbranch_vccnz .LBB5_103
; %bb.5:
	v_lshrrev_b32_e32 v2, 2, v0
	v_and_b32_e32 v1, 0xf0, v2
	v_or_b32_e32 v8, s40, v1
	v_and_b32_e32 v52, 12, v2
	v_or_b32_e32 v6, v8, v52
	s_cmp_lg_u64 s[10:11], 0
	s_cselect_b64 s[14:15], -1, 0
	v_cmp_gt_i32_e32 vcc, s30, v6
	v_mov_b32_e32 v2, 0
	s_and_b64 s[6:7], s[14:15], vcc
	v_mov_b32_e32 v3, v2
	v_mov_b32_e32 v4, v2
	;; [unrolled: 1-line block ×3, first 2 shown]
	s_and_saveexec_b64 s[4:5], s[6:7]
	s_cbranch_execz .LBB5_7
; %bb.6:
	v_ashrrev_i32_e32 v7, 31, v6
	v_lshl_add_u64 v[4:5], v[6:7], 1, s[10:11]
	global_load_ushort v3, v[4:5], off
	v_mov_b32_e32 v11, v2
	v_mov_b32_e32 v12, v2
	;; [unrolled: 1-line block ×3, first 2 shown]
	s_waitcnt vmcnt(0)
	v_lshlrev_b32_e32 v10, 16, v3
	v_mov_b64_e32 v[2:3], v[10:11]
	v_mov_b64_e32 v[4:5], v[12:13]
.LBB5_7:
	s_or_b64 exec, exec, s[4:5]
	v_or_b32_e32 v7, 1, v6
	v_cmp_gt_i32_e64 s[6:7], s30, v7
	s_and_b64 s[8:9], s[14:15], s[6:7]
	s_and_saveexec_b64 s[4:5], s[8:9]
	s_cbranch_execz .LBB5_9
; %bb.8:
	v_ashrrev_i32_e32 v7, 31, v6
	v_lshl_add_u64 v[10:11], v[6:7], 1, s[10:11]
	global_load_ushort v3, v[10:11], off offset:2
	s_waitcnt vmcnt(0)
	v_lshlrev_b32_e32 v3, 16, v3
.LBB5_9:
	s_or_b64 exec, exec, s[4:5]
	v_or_b32_e32 v9, 2, v6
	v_cmp_gt_i32_e64 s[8:9], s30, v9
	s_and_b64 s[12:13], s[14:15], s[8:9]
	s_and_saveexec_b64 s[4:5], s[12:13]
	s_cbranch_execz .LBB5_11
; %bb.10:
	v_ashrrev_i32_e32 v7, 31, v6
	v_lshl_add_u64 v[10:11], v[6:7], 1, s[10:11]
	global_load_ushort v4, v[10:11], off offset:4
	s_waitcnt vmcnt(0)
	v_lshlrev_b32_e32 v4, 16, v4
.LBB5_11:
	s_or_b64 exec, exec, s[4:5]
	v_or_b32_e32 v10, 3, v6
	v_cmp_gt_i32_e64 s[4:5], s30, v10
	v_cmp_le_i32_e64 s[12:13], s30, v10
	s_and_b64 s[14:15], s[14:15], s[4:5]
	s_and_saveexec_b64 s[4:5], s[14:15]
	s_cbranch_execz .LBB5_13
; %bb.12:
	v_ashrrev_i32_e32 v7, 31, v6
	v_lshl_add_u64 v[12:13], v[6:7], 1, s[10:11]
	global_load_ushort v5, v[12:13], off offset:6
	s_waitcnt vmcnt(0)
	v_lshlrev_b32_e32 v5, 16, v5
.LBB5_13:
	s_or_b64 exec, exec, s[4:5]
	s_add_i32 s3, s29, 63
	s_ashr_i32 s4, s3, 31
	s_lshr_b32 s4, s4, 26
	s_add_i32 s3, s3, s4
	s_ashr_i32 s3, s3, 6
	s_cmp_lt_i32 s2, s3
	s_cbranch_scc0 .LBB5_103
; %bb.14:
	s_add_i32 s4, s18, 63
	s_ashr_i32 s5, s4, 31
	s_load_dwordx4 s[24:27], s[0:1], 0x10
	s_load_dwordx2 s[10:11], s[0:1], 0x20
	s_lshr_b32 s5, s5, 26
	s_add_i32 s4, s4, s5
	s_ashr_i32 s33, s4, 6
	s_mul_hi_i32 s5, s28, s18
	s_mul_i32 s4, s28, s18
	s_ashr_i32 s15, s28, 31
	s_ashr_i32 s44, s18, 31
	s_lshl_b64 s[4:5], s[4:5], 2
	s_waitcnt lgkmcnt(0)
	s_add_u32 s4, s24, s4
	s_mul_hi_i32 s17, s28, s19
	s_mul_i32 s16, s28, s19
	s_addc_u32 s5, s25, s5
	s_lshl_b64 s[16:17], s[16:17], 2
	s_add_u32 s22, s26, s16
	v_lshlrev_b32_e32 v7, 2, v0
	s_addc_u32 s23, s27, s17
	v_and_b32_e32 v11, 60, v7
	v_and_b32_e32 v53, 15, v0
	s_mov_b32 s14, s28
	v_lshrrev_b32_e32 v54, 4, v0
	v_lshlrev_b32_e32 v12, 2, v11
	v_mov_b32_e32 v13, 0
	v_lshlrev_b32_e32 v7, 1, v11
	s_movk_i32 s36, 0x88
	s_cmp_gt_i32 s18, 0
	s_load_dwordx2 s[26:27], s[0:1], 0x48
	s_load_dword s28, s[0:1], 0x50
	v_cmp_gt_i32_e64 s[0:1], s30, v10
	v_ashrrev_i32_e32 v36, 1, v9
	v_lshl_add_u64 v[30:31], s[4:5], 0, v[12:13]
	v_mad_u32_u24 v55, v54, s36, v7
	s_cselect_b64 s[42:43], -1, 0
	v_or_b32_e32 v7, v8, v53
	v_ashrrev_i32_e32 v32, 1, v6
	s_and_b64 s[8:9], s[8:9], s[0:1]
	v_cmp_gt_i32_e64 s[0:1], s19, v36
	v_lshlrev_b32_e32 v6, 1, v52
	v_lshlrev_b32_e32 v12, 4, v53
	v_cmp_gt_i32_e64 s[4:5], s30, v7
	s_and_b64 s[6:7], vcc, s[6:7]
	v_cmp_gt_i32_e32 vcc, s19, v32
	s_and_b64 s[34:35], s[8:9], s[0:1]
	v_mad_u32_u24 v56, v53, s36, v6
	v_lshl_add_u64 v[6:7], s[24:25], 0, v[12:13]
	s_mov_b64 s[24:25], 0x100
	s_mul_i32 s0, s20, s39
	s_mul_hi_u32 s1, s20, s38
	v_add3_u32 v1, s40, v1, v53
	s_and_b64 s[30:31], s[6:7], vcc
	v_lshl_add_u64 v[38:39], v[6:7], 0, s[24:25]
	s_add_i32 s0, s1, s0
	s_mul_i32 s1, s21, s38
	v_mad_i64_i32 v[6:7], s[6:7], s18, v1, 0
	s_add_i32 s1, s0, s1
	s_mul_i32 s0, s20, s38
	v_lshlrev_b64 v[6:7], 1, v[6:7]
	v_lshrrev_b32_e32 v0, 1, v0
	v_lshl_add_u64 v[6:7], s[0:1], 1, v[6:7]
	v_and_b32_e32 v12, 24, v0
	v_lshl_add_u64 v[0:1], v[6:7], 0, v[12:13]
	v_ashrrev_i32_e32 v33, 31, v32
	s_max_i32 s37, s33, 1
	v_lshl_add_u64 v[0:1], s[10:11], 0, v[0:1]
	s_mov_b64 s[0:1], 0x64
	v_cndmask_b32_e64 v6, 0, 1, s[42:43]
	s_mov_b32 s45, s18
	s_mov_b32 s46, s19
	v_cmp_gt_i32_e64 s[16:17], s18, v11
	v_lshl_add_u64 v[34:35], v[32:33], 2, s[22:23]
	v_ashrrev_i32_e32 v37, 31, v36
	s_lshl_b32 s19, s37, 6
	s_lshl_b64 s[36:37], s[14:15], 2
	v_add_u32_e32 v40, s41, v54
	s_waitcnt lgkmcnt(0)
	s_lshl_b32 s47, s28, 6
	v_lshl_add_u64 v[0:1], v[0:1], 0, s[0:1]
	v_or_b32_e32 v57, 64, v11
	s_mov_b32 s48, 0x5040100
	v_cmp_ne_u32_e64 s[6:7], 1, v6
	s_mov_b32 s49, 0xffff
	s_mov_b64 s[20:21], 0x80
	s_branch .LBB5_17
.LBB5_15:                               ;   in Loop: Header=BB5_17 Depth=1
	s_or_b64 exec, exec, s[8:9]
.LBB5_16:                               ;   in Loop: Header=BB5_17 Depth=1
	s_or_b64 exec, exec, s[0:1]
	s_add_i32 s2, s28, s2
	s_cmp_lt_i32 s2, s3
	v_add_u32_e32 v40, s47, v40
	s_barrier
	s_cbranch_scc0 .LBB5_103
.LBB5_17:                               ; =>This Loop Header: Depth=1
                                        ;     Child Loop BB5_23 Depth 2
	s_lshl_b32 s38, s2, 6
	v_or_b32_e32 v8, s38, v54
	v_cmp_gt_i32_e64 s[8:9], s29, v8
	s_and_b64 s[10:11], s[8:9], s[16:17]
	v_mov_b32_e32 v6, 0
	v_mov_b32_e32 v7, 0
	s_and_saveexec_b64 s[0:1], s[10:11]
	s_cbranch_execz .LBB5_19
; %bb.18:                               ;   in Loop: Header=BB5_17 Depth=1
	v_mad_i64_i32 v[6:7], s[10:11], v8, s45, 0
	v_lshl_add_u64 v[6:7], v[6:7], 2, v[30:31]
	global_load_dwordx4 v[6:9], v[6:7], off
	s_waitcnt vmcnt(0)
	v_cvt_pk_bf16_f32 v6, v6, s0
	v_cvt_pk_bf16_f32 v7, v7, v8
	;; [unrolled: 1-line block ×3, first 2 shown]
	v_perm_b32 v6, v7, v6, s48
	v_alignbit_b32 v7, v8, v7, 16
.LBB5_19:                               ;   in Loop: Header=BB5_17 Depth=1
	s_or_b64 exec, exec, s[0:1]
	ds_write_b64 v55, v[6:7]
	v_mov_b64_e32 v[20:21], v[4:5]
	v_mov_b64_e32 v[16:17], v[4:5]
	;; [unrolled: 1-line block ×4, first 2 shown]
	s_and_b64 vcc, exec, s[6:7]
	v_mov_b64_e32 v[18:19], v[2:3]
	v_mov_b64_e32 v[14:15], v[2:3]
	;; [unrolled: 1-line block ×4, first 2 shown]
	s_waitcnt lgkmcnt(0)
	s_barrier
	s_cbranch_vccnz .LBB5_74
; %bb.20:                               ;   in Loop: Header=BB5_17 Depth=1
	v_ashrrev_i32_e32 v41, 31, v40
	v_lshl_add_u64 v[6:7], v[40:41], 2, s[36:37]
	v_mul_lo_u32 v7, s45, v7
	v_mul_lo_u32 v8, s44, v6
	v_mad_u64_u32 v[42:43], s[0:1], s45, v6, v[38:39]
	v_add3_u32 v43, v8, v43, v7
	v_mov_b64_e32 v[20:21], v[4:5]
	v_mov_b64_e32 v[16:17], v[4:5]
	;; [unrolled: 1-line block ×4, first 2 shown]
	s_mov_b32 s39, 0
	s_mov_b32 s40, 1
	v_mov_b64_e32 v[44:45], v[0:1]
	v_mov_b64_e32 v[18:19], v[2:3]
	;; [unrolled: 1-line block ×5, first 2 shown]
	s_branch .LBB5_23
.LBB5_21:                               ;   in Loop: Header=BB5_23 Depth=2
	s_or_b64 exec, exec, s[10:11]
.LBB5_22:                               ;   in Loop: Header=BB5_23 Depth=2
	s_or_b64 exec, exec, s[0:1]
	ds_read2_b64 v[22:25], v58 offset0:8 offset1:12
	v_add_u32_e32 v26, 0x800, v58
	ds_read2_b64 v[26:29], v26 offset0:24 offset1:28
	s_add_i32 s39, s39, 64
	s_add_i32 s40, s40, 1
	s_waitcnt vmcnt(0) lgkmcnt(1)
	v_mfma_f32_16x16x16_bf16 v[18:21], v[50:51], v[22:23], v[18:21]
	v_add_u32_e32 v22, 0x1000, v58
	ds_read2_b64 v[60:63], v22 offset0:40 offset1:44
	v_add_u32_e32 v22, 0x1800, v58
	s_waitcnt lgkmcnt(1)
	v_mfma_f32_16x16x16_bf16 v[10:13], v[50:51], v[26:27], v[10:13]
	v_lshl_add_u64 v[42:43], v[42:43], 0, s[24:25]
	v_lshl_add_u64 v[44:45], v[44:45], 0, s[20:21]
	s_cmp_eq_u32 s19, s39
	s_waitcnt lgkmcnt(0)
	v_mfma_f32_16x16x16_bf16 v[6:9], v[50:51], v[60:61], v[6:9]
	ds_read2_b64 v[58:61], v22 offset0:56 offset1:60
	s_waitcnt lgkmcnt(0)
	s_barrier
	v_mfma_f32_16x16x16_bf16 v[64:67], v[50:51], v[58:59], v[14:17]
	v_mfma_f32_16x16x16_bf16 v[18:21], v[48:49], v[24:25], v[18:21]
	;; [unrolled: 1-line block ×5, first 2 shown]
	s_cbranch_scc1 .LBB5_74
.LBB5_23:                               ;   Parent Loop BB5_17 Depth=1
                                        ; =>  This Inner Loop Header: Depth=2
	s_add_i32 s0, s40, -1
	s_and_b32 s41, s0, 1
	s_cmp_ge_i32 s40, s33
	s_cbranch_scc1 .LBB5_27
; %bb.24:                               ;   in Loop: Header=BB5_23 Depth=2
	v_add_u32_e32 v22, s39, v57
	v_cmp_gt_i32_e32 vcc, s18, v22
	s_and_b64 s[10:11], s[8:9], vcc
	v_mov_b32_e32 v22, 0
	v_mov_b32_e32 v23, 0
	s_and_saveexec_b64 s[0:1], s[10:11]
	s_cbranch_execz .LBB5_26
; %bb.25:                               ;   in Loop: Header=BB5_23 Depth=2
	global_load_dwordx4 v[22:25], v[42:43], off
	s_waitcnt vmcnt(0)
	v_cvt_pk_bf16_f32 v22, v22, s0
	v_cvt_pk_bf16_f32 v23, v23, v24
	;; [unrolled: 1-line block ×3, first 2 shown]
	v_perm_b32 v22, v23, v22, s48
	v_alignbit_b32 v23, v24, v23, 16
.LBB5_26:                               ;   in Loop: Header=BB5_23 Depth=2
	s_or_b64 exec, exec, s[0:1]
	s_xor_b32 s0, s41, 1
	s_mulk_i32 s0, 0x2200
	v_add_u32_e32 v24, s0, v55
	ds_write_b64 v24, v[22:23]
.LBB5_27:                               ;   in Loop: Header=BB5_23 Depth=2
	v_add_u32_e32 v41, s39, v52
	v_mov_b32_e32 v46, 0
	v_mov_b32_e32 v26, 0
	;; [unrolled: 1-line block ×3, first 2 shown]
	s_and_saveexec_b64 s[0:1], s[4:5]
	s_cbranch_execz .LBB5_39
; %bb.28:                               ;   in Loop: Header=BB5_23 Depth=2
	v_add_u32_e32 v22, 3, v41
	v_cmp_le_i32_e32 vcc, s18, v22
                                        ; implicit-def: $vgpr27
	s_and_saveexec_b64 s[10:11], vcc
	s_xor_b64 s[10:11], exec, s[10:11]
	s_cbranch_execz .LBB5_36
; %bb.29:                               ;   in Loop: Header=BB5_23 Depth=2
	v_cmp_gt_i32_e32 vcc, s18, v41
	v_mov_b32_e32 v27, 0
	v_mov_b32_e32 v26, 0
	s_and_saveexec_b64 s[14:15], vcc
	s_cbranch_execz .LBB5_31
; %bb.30:                               ;   in Loop: Header=BB5_23 Depth=2
	global_load_ushort v22, v[44:45], off offset:-100
	s_waitcnt vmcnt(0)
	v_and_b32_e32 v26, 0xffff, v22
.LBB5_31:                               ;   in Loop: Header=BB5_23 Depth=2
	s_or_b64 exec, exec, s[14:15]
	v_add_u32_e32 v22, 1, v41
	v_cmp_gt_i32_e32 vcc, s18, v22
	s_and_saveexec_b64 s[14:15], vcc
	s_cbranch_execz .LBB5_33
; %bb.32:                               ;   in Loop: Header=BB5_23 Depth=2
	global_load_ushort v22, v[44:45], off offset:-98
	s_waitcnt vmcnt(0)
	v_perm_b32 v26, v22, v26, s48
.LBB5_33:                               ;   in Loop: Header=BB5_23 Depth=2
	s_or_b64 exec, exec, s[14:15]
	v_add_u32_e32 v22, 2, v41
	v_cmp_gt_i32_e32 vcc, s18, v22
	s_and_saveexec_b64 s[14:15], vcc
	s_cbranch_execz .LBB5_35
; %bb.34:                               ;   in Loop: Header=BB5_23 Depth=2
	global_load_ushort v22, v[44:45], off offset:-96
	s_waitcnt vmcnt(0)
	v_bfi_b32 v27, s49, v22, v27
.LBB5_35:                               ;   in Loop: Header=BB5_23 Depth=2
	s_or_b64 exec, exec, s[14:15]
.LBB5_36:                               ;   in Loop: Header=BB5_23 Depth=2
	s_andn2_saveexec_b64 s[10:11], s[10:11]
	s_cbranch_execz .LBB5_38
; %bb.37:                               ;   in Loop: Header=BB5_23 Depth=2
	global_load_dwordx2 v[26:27], v[44:45], off offset:-100
.LBB5_38:                               ;   in Loop: Header=BB5_23 Depth=2
	s_or_b64 exec, exec, s[10:11]
.LBB5_39:                               ;   in Loop: Header=BB5_23 Depth=2
	s_or_b64 exec, exec, s[0:1]
	v_mov_b32_e32 v47, 0
	s_and_saveexec_b64 s[0:1], s[4:5]
	s_cbranch_execz .LBB5_51
; %bb.40:                               ;   in Loop: Header=BB5_23 Depth=2
	v_add_u32_e32 v22, 19, v41
	v_cmp_le_i32_e32 vcc, s18, v22
                                        ; implicit-def: $vgpr47
	s_and_saveexec_b64 s[10:11], vcc
	s_xor_b64 s[10:11], exec, s[10:11]
	s_cbranch_execz .LBB5_48
; %bb.41:                               ;   in Loop: Header=BB5_23 Depth=2
	v_add_u32_e32 v22, 16, v41
	v_cmp_gt_i32_e32 vcc, s18, v22
	v_mov_b32_e32 v47, 0
	v_mov_b32_e32 v46, 0
	s_and_saveexec_b64 s[14:15], vcc
	s_cbranch_execz .LBB5_43
; %bb.42:                               ;   in Loop: Header=BB5_23 Depth=2
	global_load_ushort v22, v[44:45], off offset:-68
	s_waitcnt vmcnt(0)
	v_and_b32_e32 v46, 0xffff, v22
.LBB5_43:                               ;   in Loop: Header=BB5_23 Depth=2
	s_or_b64 exec, exec, s[14:15]
	v_add_u32_e32 v22, 17, v41
	v_cmp_gt_i32_e32 vcc, s18, v22
	s_and_saveexec_b64 s[14:15], vcc
	s_cbranch_execz .LBB5_45
; %bb.44:                               ;   in Loop: Header=BB5_23 Depth=2
	global_load_ushort v22, v[44:45], off offset:-66
	s_waitcnt vmcnt(0)
	v_perm_b32 v46, v22, v46, s48
.LBB5_45:                               ;   in Loop: Header=BB5_23 Depth=2
	s_or_b64 exec, exec, s[14:15]
	v_add_u32_e32 v22, 18, v41
	v_cmp_gt_i32_e32 vcc, s18, v22
	s_and_saveexec_b64 s[14:15], vcc
	s_cbranch_execz .LBB5_47
; %bb.46:                               ;   in Loop: Header=BB5_23 Depth=2
	global_load_ushort v22, v[44:45], off offset:-64
	s_waitcnt vmcnt(0)
	v_bfi_b32 v47, s49, v22, v47
.LBB5_47:                               ;   in Loop: Header=BB5_23 Depth=2
	s_or_b64 exec, exec, s[14:15]
.LBB5_48:                               ;   in Loop: Header=BB5_23 Depth=2
	s_andn2_saveexec_b64 s[10:11], s[10:11]
	s_cbranch_execz .LBB5_50
; %bb.49:                               ;   in Loop: Header=BB5_23 Depth=2
	global_load_dwordx2 v[46:47], v[44:45], off offset:-68
.LBB5_50:                               ;   in Loop: Header=BB5_23 Depth=2
	s_or_b64 exec, exec, s[10:11]
.LBB5_51:                               ;   in Loop: Header=BB5_23 Depth=2
	s_or_b64 exec, exec, s[0:1]
	s_mulk_i32 s41, 0x2200
	v_add_u32_e32 v58, s41, v56
	ds_read_b64 v[22:23], v58
	ds_read_b64 v[24:25], v58 offset:2176
	ds_read_b64 v[28:29], v58 offset:4352
	;; [unrolled: 1-line block ×3, first 2 shown]
	v_mov_b32_e32 v48, 0
	s_waitcnt vmcnt(0) lgkmcnt(3)
	v_mfma_f32_16x16x16_bf16 v[18:21], v[26:27], v[22:23], v[18:21]
	v_mov_b32_e32 v50, 0
	v_mov_b32_e32 v51, 0
	s_waitcnt lgkmcnt(2)
	v_mfma_f32_16x16x16_bf16 v[14:17], v[26:27], v[24:25], v[14:17]
	s_waitcnt lgkmcnt(1)
	v_mfma_f32_16x16x16_bf16 v[22:25], v[26:27], v[28:29], v[10:13]
	;; [unrolled: 2-line block ×3, first 2 shown]
	s_and_saveexec_b64 s[0:1], s[4:5]
	s_cbranch_execz .LBB5_63
; %bb.52:                               ;   in Loop: Header=BB5_23 Depth=2
	s_nop 0
	v_add_u32_e32 v6, 35, v41
	v_cmp_le_i32_e32 vcc, s18, v6
                                        ; implicit-def: $vgpr51
	s_and_saveexec_b64 s[10:11], vcc
	s_xor_b64 s[10:11], exec, s[10:11]
	s_cbranch_execz .LBB5_60
; %bb.53:                               ;   in Loop: Header=BB5_23 Depth=2
	v_add_u32_e32 v6, 32, v41
	v_cmp_gt_i32_e32 vcc, s18, v6
	v_mov_b32_e32 v51, 0
	v_mov_b32_e32 v50, 0
	s_and_saveexec_b64 s[14:15], vcc
	s_cbranch_execz .LBB5_55
; %bb.54:                               ;   in Loop: Header=BB5_23 Depth=2
	global_load_ushort v6, v[44:45], off offset:-36
	s_waitcnt vmcnt(0)
	v_and_b32_e32 v50, 0xffff, v6
.LBB5_55:                               ;   in Loop: Header=BB5_23 Depth=2
	s_or_b64 exec, exec, s[14:15]
	v_add_u32_e32 v6, 33, v41
	v_cmp_gt_i32_e32 vcc, s18, v6
	s_and_saveexec_b64 s[14:15], vcc
	s_cbranch_execz .LBB5_57
; %bb.56:                               ;   in Loop: Header=BB5_23 Depth=2
	global_load_ushort v6, v[44:45], off offset:-34
	s_waitcnt vmcnt(0)
	v_perm_b32 v50, v6, v50, s48
.LBB5_57:                               ;   in Loop: Header=BB5_23 Depth=2
	s_or_b64 exec, exec, s[14:15]
	v_add_u32_e32 v6, 34, v41
	v_cmp_gt_i32_e32 vcc, s18, v6
	s_and_saveexec_b64 s[14:15], vcc
	s_cbranch_execz .LBB5_59
; %bb.58:                               ;   in Loop: Header=BB5_23 Depth=2
	global_load_ushort v6, v[44:45], off offset:-32
	s_waitcnt vmcnt(0)
	v_bfi_b32 v51, s49, v6, v51
.LBB5_59:                               ;   in Loop: Header=BB5_23 Depth=2
	s_or_b64 exec, exec, s[14:15]
.LBB5_60:                               ;   in Loop: Header=BB5_23 Depth=2
	s_andn2_saveexec_b64 s[10:11], s[10:11]
	s_cbranch_execz .LBB5_62
; %bb.61:                               ;   in Loop: Header=BB5_23 Depth=2
	global_load_dwordx2 v[50:51], v[44:45], off offset:-36
.LBB5_62:                               ;   in Loop: Header=BB5_23 Depth=2
	s_or_b64 exec, exec, s[10:11]
.LBB5_63:                               ;   in Loop: Header=BB5_23 Depth=2
	s_or_b64 exec, exec, s[0:1]
	ds_read_b64 v[6:7], v58 offset:32
	ds_read_b64 v[8:9], v58 offset:2208
	;; [unrolled: 1-line block ×4, first 2 shown]
	v_mov_b32_e32 v49, 0
	s_waitcnt lgkmcnt(3)
	v_mfma_f32_16x16x16_bf16 v[18:21], v[46:47], v[6:7], v[18:21]
	s_waitcnt lgkmcnt(2)
	v_mfma_f32_16x16x16_bf16 v[10:13], v[46:47], v[8:9], v[14:17]
	;; [unrolled: 2-line block ×4, first 2 shown]
	s_and_saveexec_b64 s[0:1], s[4:5]
	s_cbranch_execz .LBB5_22
; %bb.64:                               ;   in Loop: Header=BB5_23 Depth=2
	v_add_u32_e32 v22, 51, v41
	v_cmp_le_i32_e32 vcc, s18, v22
                                        ; implicit-def: $vgpr49
	s_and_saveexec_b64 s[10:11], vcc
	s_xor_b64 s[10:11], exec, s[10:11]
	s_cbranch_execz .LBB5_72
; %bb.65:                               ;   in Loop: Header=BB5_23 Depth=2
	v_add_u32_e32 v22, 48, v41
	v_cmp_gt_i32_e32 vcc, s18, v22
	v_mov_b32_e32 v49, 0
	v_mov_b32_e32 v48, 0
	s_and_saveexec_b64 s[14:15], vcc
	s_cbranch_execz .LBB5_67
; %bb.66:                               ;   in Loop: Header=BB5_23 Depth=2
	global_load_ushort v22, v[44:45], off offset:-4
	s_waitcnt vmcnt(0)
	v_and_b32_e32 v48, 0xffff, v22
.LBB5_67:                               ;   in Loop: Header=BB5_23 Depth=2
	s_or_b64 exec, exec, s[14:15]
	v_add_u32_e32 v22, 49, v41
	v_cmp_gt_i32_e32 vcc, s18, v22
	s_and_saveexec_b64 s[14:15], vcc
	s_cbranch_execz .LBB5_69
; %bb.68:                               ;   in Loop: Header=BB5_23 Depth=2
	global_load_ushort v22, v[44:45], off offset:-2
	s_waitcnt vmcnt(0)
	v_perm_b32 v48, v22, v48, s48
.LBB5_69:                               ;   in Loop: Header=BB5_23 Depth=2
	s_or_b64 exec, exec, s[14:15]
	v_add_u32_e32 v22, 50, v41
	v_cmp_gt_i32_e32 vcc, s18, v22
	s_and_saveexec_b64 s[14:15], vcc
	s_cbranch_execz .LBB5_71
; %bb.70:                               ;   in Loop: Header=BB5_23 Depth=2
	global_load_ushort v22, v[44:45], off
	s_waitcnt vmcnt(0)
	v_bfi_b32 v49, s49, v22, v49
.LBB5_71:                               ;   in Loop: Header=BB5_23 Depth=2
	s_or_b64 exec, exec, s[14:15]
.LBB5_72:                               ;   in Loop: Header=BB5_23 Depth=2
	s_andn2_saveexec_b64 s[10:11], s[10:11]
	s_cbranch_execz .LBB5_21
; %bb.73:                               ;   in Loop: Header=BB5_23 Depth=2
	global_load_dwordx2 v[48:49], v[44:45], off offset:-4
	s_branch .LBB5_21
.LBB5_74:                               ;   in Loop: Header=BB5_17 Depth=1
	v_or_b32_e32 v25, s38, v53
	v_or_b32_e32 v24, 16, v25
	;; [unrolled: 1-line block ×4, first 2 shown]
	s_and_saveexec_b64 s[0:1], s[12:13]
	s_xor_b64 s[38:39], exec, s[0:1]
	s_cbranch_execz .LBB5_88
; %bb.75:                               ;   in Loop: Header=BB5_17 Depth=1
	v_mad_i64_i32 v[26:27], s[0:1], v25, s46, 0
	v_cmp_gt_i32_e64 s[14:15], s29, v25
	v_cmp_gt_i32_e64 s[0:1], s29, v24
	v_mad_i64_i32 v[24:25], s[8:9], v24, s46, 0
	v_lshl_add_u64 v[28:29], v[26:27], 2, s[22:23]
	v_lshl_add_u64 v[26:27], v[24:25], 2, s[22:23]
	v_mad_i64_i32 v[24:25], s[8:9], v23, s46, 0
	v_cmp_gt_i32_e64 s[10:11], s29, v23
	v_cmp_gt_i32_e64 s[8:9], s29, v22
	v_mad_i64_i32 v[22:23], s[40:41], v22, s46, 0
	v_lshl_add_u64 v[24:25], v[24:25], 2, s[22:23]
	v_lshl_add_u64 v[22:23], v[22:23], 2, s[22:23]
	s_and_saveexec_b64 s[40:41], s[30:31]
	s_cbranch_execz .LBB5_81
; %bb.76:                               ;   in Loop: Header=BB5_17 Depth=1
	s_and_saveexec_b64 s[42:43], s[14:15]
	s_cbranch_execnz .LBB5_97
; %bb.77:                               ;   in Loop: Header=BB5_17 Depth=1
	s_or_b64 exec, exec, s[42:43]
	s_and_saveexec_b64 s[42:43], s[0:1]
	s_cbranch_execnz .LBB5_98
.LBB5_78:                               ;   in Loop: Header=BB5_17 Depth=1
	s_or_b64 exec, exec, s[42:43]
	s_and_saveexec_b64 s[42:43], s[10:11]
	s_cbranch_execnz .LBB5_99
.LBB5_79:                               ;   in Loop: Header=BB5_17 Depth=1
	s_or_b64 exec, exec, s[42:43]
	s_and_b64 exec, exec, s[8:9]
	s_cbranch_execz .LBB5_81
.LBB5_80:                               ;   in Loop: Header=BB5_17 Depth=1
	v_max_f32_e32 v6, v6, v6
	v_max_f32_e64 v14, s27, s27
	v_min_f32_e32 v6, v6, v14
	v_mul_f32_e32 v10, s26, v6
	v_mul_f32_e32 v10, 0xbfb8aa3b, v10
	v_exp_f32_e32 v15, v10
	v_max_f32_e64 v18, -s27, -s27
	v_max_f32_e32 v7, v7, v7
	v_max_f32_e32 v7, v7, v18
	v_add_f32_e32 v15, 1.0, v15
	v_div_scale_f32 v19, s[42:43], v15, v15, 1.0
	v_rcp_f32_e32 v41, v19
	v_min_f32_e32 v7, v7, v14
	v_add_f32_e32 v7, 1.0, v7
	v_lshl_add_u64 v[10:11], v[32:33], 2, v[22:23]
	v_fma_f32 v14, -v19, v41, 1.0
	v_fmac_f32_e32 v41, v14, v41
	v_div_scale_f32 v14, vcc, 1.0, v15, 1.0
	v_mul_f32_e32 v18, v14, v41
	v_fma_f32 v42, -v19, v18, v14
	v_fmac_f32_e32 v18, v42, v41
	v_fma_f32 v14, -v19, v18, v14
	v_div_fmas_f32 v14, v14, v41, v18
	v_div_fixup_f32 v14, v14, v15, 1.0
	v_mul_f32_e32 v6, v6, v14
	v_mul_f32_e32 v6, v7, v6
	global_store_dword v[10:11], v6, off nt
.LBB5_81:                               ;   in Loop: Header=BB5_17 Depth=1
	s_or_b64 exec, exec, s[40:41]
	s_and_saveexec_b64 s[40:41], s[34:35]
	s_cbranch_execz .LBB5_87
; %bb.82:                               ;   in Loop: Header=BB5_17 Depth=1
	s_and_saveexec_b64 s[42:43], s[14:15]
	s_cbranch_execnz .LBB5_100
; %bb.83:                               ;   in Loop: Header=BB5_17 Depth=1
	s_or_b64 exec, exec, s[42:43]
	s_and_saveexec_b64 s[14:15], s[0:1]
	s_cbranch_execnz .LBB5_101
.LBB5_84:                               ;   in Loop: Header=BB5_17 Depth=1
	s_or_b64 exec, exec, s[14:15]
	s_and_saveexec_b64 s[0:1], s[10:11]
	s_cbranch_execnz .LBB5_102
.LBB5_85:                               ;   in Loop: Header=BB5_17 Depth=1
	s_or_b64 exec, exec, s[0:1]
	s_and_b64 exec, exec, s[8:9]
	s_cbranch_execz .LBB5_87
.LBB5_86:                               ;   in Loop: Header=BB5_17 Depth=1
	v_max_f32_e32 v6, v8, v8
	v_max_f32_e64 v8, s27, s27
	v_min_f32_e32 v10, v6, v8
	v_mul_f32_e32 v6, s26, v10
	v_mul_f32_e32 v6, 0xbfb8aa3b, v6
	v_exp_f32_e32 v11, v6
	v_max_f32_e64 v12, -s27, -s27
	v_max_f32_e32 v9, v9, v9
	v_max_f32_e32 v9, v9, v12
	v_add_f32_e32 v11, 1.0, v11
	v_div_scale_f32 v13, s[0:1], v11, v11, 1.0
	v_rcp_f32_e32 v14, v13
	v_min_f32_e32 v8, v9, v8
	v_add_f32_e32 v8, 1.0, v8
	v_lshl_add_u64 v[6:7], v[36:37], 2, v[22:23]
	v_fma_f32 v9, -v13, v14, 1.0
	v_fmac_f32_e32 v14, v9, v14
	v_div_scale_f32 v9, vcc, 1.0, v11, 1.0
	v_mul_f32_e32 v12, v9, v14
	v_fma_f32 v15, -v13, v12, v9
	v_fmac_f32_e32 v12, v15, v14
	v_fma_f32 v9, -v13, v12, v9
	v_div_fmas_f32 v9, v9, v14, v12
	v_div_fixup_f32 v9, v9, v11, 1.0
	v_mul_f32_e32 v9, v10, v9
	v_mul_f32_e32 v8, v8, v9
	global_store_dword v[6:7], v8, off nt
.LBB5_87:                               ;   in Loop: Header=BB5_17 Depth=1
	s_or_b64 exec, exec, s[40:41]
                                        ; implicit-def: $vgpr22
                                        ; implicit-def: $vgpr6_vgpr7_vgpr8_vgpr9
                                        ; implicit-def: $vgpr23
                                        ; implicit-def: $vgpr10_vgpr11_vgpr12_vgpr13
                                        ; implicit-def: $vgpr24
                                        ; implicit-def: $vgpr14_vgpr15_vgpr16_vgpr17
                                        ; implicit-def: $vgpr25
                                        ; implicit-def: $vgpr18_vgpr19_vgpr20_vgpr21
.LBB5_88:                               ;   in Loop: Header=BB5_17 Depth=1
	s_andn2_saveexec_b64 s[0:1], s[38:39]
	s_cbranch_execz .LBB5_16
; %bb.89:                               ;   in Loop: Header=BB5_17 Depth=1
	v_cmp_gt_i32_e32 vcc, s29, v25
	s_and_saveexec_b64 s[8:9], vcc
	s_cbranch_execnz .LBB5_93
; %bb.90:                               ;   in Loop: Header=BB5_17 Depth=1
	s_or_b64 exec, exec, s[8:9]
	v_cmp_gt_i32_e32 vcc, s29, v24
	s_and_saveexec_b64 s[8:9], vcc
	s_cbranch_execnz .LBB5_94
.LBB5_91:                               ;   in Loop: Header=BB5_17 Depth=1
	s_or_b64 exec, exec, s[8:9]
	v_cmp_gt_i32_e32 vcc, s29, v23
	s_and_saveexec_b64 s[8:9], vcc
	s_cbranch_execnz .LBB5_95
.LBB5_92:                               ;   in Loop: Header=BB5_17 Depth=1
	s_or_b64 exec, exec, s[8:9]
	v_cmp_gt_i32_e32 vcc, s29, v22
	s_and_saveexec_b64 s[8:9], vcc
	s_cbranch_execz .LBB5_15
	s_branch .LBB5_96
.LBB5_93:                               ;   in Loop: Header=BB5_17 Depth=1
	v_max_f32_e64 v41, s27, s27
	v_max_f32_e32 v20, v20, v20
	v_max_f32_e32 v29, v21, v21
	v_min_f32_e32 v21, v20, v41
	v_mul_f32_e64 v20, v21, -s26
	v_mul_f32_e32 v20, 0x3fb8aa3b, v20
	v_max_f32_e32 v18, v18, v18
	v_exp_f32_e32 v27, v20
	v_min_f32_e32 v20, v18, v41
	v_mul_f32_e64 v18, v20, -s26
	v_mul_f32_e32 v18, 0x3fb8aa3b, v18
	v_exp_f32_e32 v26, v18
	v_max_f32_e64 v28, -s27, -s27
	v_max_f32_e32 v18, v29, v28
	v_min_f32_e32 v29, v18, v41
	v_max_f32_e32 v42, v19, v19
	v_pk_add_f32 v[18:19], v[26:27], 1.0 op_sel_hi:[1,0]
	v_max_f32_e32 v26, v42, v28
	v_div_scale_f32 v43, s[10:11], v19, v19, 1.0
	v_rcp_f32_e32 v44, v43
	v_min_f32_e32 v28, v26, v41
	v_pk_add_f32 v[26:27], v[28:29], 1.0 op_sel_hi:[1,0]
	v_fma_f32 v28, -v43, v44, 1.0
	v_fmac_f32_e32 v44, v28, v44
	v_div_scale_f32 v28, vcc, 1.0, v19, 1.0
	v_mul_f32_e32 v29, v28, v44
	v_fma_f32 v41, -v43, v29, v28
	v_fmac_f32_e32 v29, v41, v44
	v_div_scale_f32 v41, s[10:11], v18, v18, 1.0
	v_rcp_f32_e32 v42, v41
	v_fma_f32 v28, -v43, v29, v28
	v_div_fmas_f32 v28, v28, v44, v29
	v_div_fixup_f32 v19, v28, v19, 1.0
	v_fma_f32 v28, -v41, v42, 1.0
	v_fmac_f32_e32 v42, v28, v42
	v_div_scale_f32 v28, vcc, 1.0, v18, 1.0
	v_mul_f32_e32 v29, v28, v42
	v_fma_f32 v43, -v41, v29, v28
	v_fmac_f32_e32 v29, v43, v42
	v_fma_f32 v28, -v41, v29, v28
	v_div_fmas_f32 v28, v28, v42, v29
	v_div_fixup_f32 v18, v28, v18, 1.0
	v_pk_mul_f32 v[18:19], v[20:21], v[18:19]
	v_mad_i64_i32 v[20:21], s[10:11], v25, s46, 0
	v_pk_mul_f32 v[18:19], v[26:27], v[18:19]
	v_lshl_add_u64 v[20:21], v[20:21], 2, v[34:35]
	global_store_dwordx2 v[20:21], v[18:19], off
	s_or_b64 exec, exec, s[8:9]
	v_cmp_gt_i32_e32 vcc, s29, v24
	s_and_saveexec_b64 s[8:9], vcc
	s_cbranch_execz .LBB5_91
.LBB5_94:                               ;   in Loop: Header=BB5_17 Depth=1
	v_max_f32_e32 v14, v14, v14
	v_max_f32_e64 v25, s27, s27
	v_min_f32_e32 v18, v14, v25
	v_mul_f32_e64 v14, v18, -s26
	v_mul_f32_e32 v14, 0x3fb8aa3b, v14
	v_exp_f32_e32 v20, v14
	v_max_f32_e32 v14, v16, v16
	v_min_f32_e32 v19, v14, v25
	v_mul_f32_e64 v14, v19, -s26
	v_mul_f32_e32 v14, 0x3fb8aa3b, v14
	v_exp_f32_e32 v21, v14
	v_max_f32_e64 v26, -s27, -s27
	v_max_f32_e32 v14, v15, v15
	v_max_f32_e32 v15, v17, v17
	v_pk_add_f32 v[20:21], v[20:21], 1.0 op_sel_hi:[1,0]
	v_max_f32_e32 v14, v14, v26
	v_div_scale_f32 v16, s[10:11], v21, v21, 1.0
	v_rcp_f32_e32 v27, v16
	v_max_f32_e32 v15, v15, v26
	v_min_f32_e32 v14, v14, v25
	v_min_f32_e32 v15, v15, v25
	v_fma_f32 v17, -v16, v27, 1.0
	v_fmac_f32_e32 v27, v17, v27
	v_div_scale_f32 v17, vcc, 1.0, v21, 1.0
	v_mul_f32_e32 v25, v17, v27
	v_fma_f32 v26, -v16, v25, v17
	v_fmac_f32_e32 v25, v26, v27
	v_div_scale_f32 v26, s[10:11], v20, v20, 1.0
	v_rcp_f32_e32 v28, v26
	v_fma_f32 v16, -v16, v25, v17
	v_div_fmas_f32 v16, v16, v27, v25
	v_div_fixup_f32 v17, v16, v21, 1.0
	v_fma_f32 v16, -v26, v28, 1.0
	v_fmac_f32_e32 v28, v16, v28
	v_div_scale_f32 v16, vcc, 1.0, v20, 1.0
	v_mul_f32_e32 v21, v16, v28
	v_fma_f32 v25, -v26, v21, v16
	v_fmac_f32_e32 v21, v25, v28
	v_fma_f32 v16, -v26, v21, v16
	v_div_fmas_f32 v16, v16, v28, v21
	v_div_fixup_f32 v16, v16, v20, 1.0
	v_pk_mul_f32 v[16:17], v[18:19], v[16:17]
	v_pk_add_f32 v[14:15], v[14:15], 1.0 op_sel_hi:[1,0]
	s_nop 0
	v_pk_mul_f32 v[14:15], v[14:15], v[16:17]
	v_mad_i64_i32 v[16:17], s[10:11], v24, s46, 0
	v_lshl_add_u64 v[16:17], v[16:17], 2, v[34:35]
	global_store_dwordx2 v[16:17], v[14:15], off
	s_or_b64 exec, exec, s[8:9]
	v_cmp_gt_i32_e32 vcc, s29, v23
	s_and_saveexec_b64 s[8:9], vcc
	s_cbranch_execz .LBB5_92
.LBB5_95:                               ;   in Loop: Header=BB5_17 Depth=1
	v_max_f32_e32 v10, v10, v10
	v_max_f32_e64 v18, s27, s27
	v_min_f32_e32 v14, v10, v18
	v_mul_f32_e64 v10, v14, -s26
	v_mul_f32_e32 v10, 0x3fb8aa3b, v10
	v_exp_f32_e32 v16, v10
	v_max_f32_e32 v10, v12, v12
	v_min_f32_e32 v15, v10, v18
	v_mul_f32_e64 v10, v15, -s26
	v_mul_f32_e32 v10, 0x3fb8aa3b, v10
	v_exp_f32_e32 v17, v10
	v_max_f32_e64 v19, -s27, -s27
	v_max_f32_e32 v10, v11, v11
	v_max_f32_e32 v11, v13, v13
	v_pk_add_f32 v[16:17], v[16:17], 1.0 op_sel_hi:[1,0]
	v_max_f32_e32 v10, v10, v19
	v_div_scale_f32 v12, s[10:11], v17, v17, 1.0
	v_rcp_f32_e32 v20, v12
	v_max_f32_e32 v11, v11, v19
	v_min_f32_e32 v10, v10, v18
	v_min_f32_e32 v11, v11, v18
	v_fma_f32 v13, -v12, v20, 1.0
	v_fmac_f32_e32 v20, v13, v20
	v_div_scale_f32 v13, vcc, 1.0, v17, 1.0
	v_mul_f32_e32 v18, v13, v20
	v_fma_f32 v19, -v12, v18, v13
	v_fmac_f32_e32 v18, v19, v20
	v_div_scale_f32 v19, s[10:11], v16, v16, 1.0
	v_rcp_f32_e32 v21, v19
	v_fma_f32 v12, -v12, v18, v13
	v_div_fmas_f32 v12, v12, v20, v18
	v_div_fixup_f32 v13, v12, v17, 1.0
	v_fma_f32 v12, -v19, v21, 1.0
	v_fmac_f32_e32 v21, v12, v21
	v_div_scale_f32 v12, vcc, 1.0, v16, 1.0
	v_mul_f32_e32 v17, v12, v21
	v_fma_f32 v18, -v19, v17, v12
	v_fmac_f32_e32 v17, v18, v21
	v_fma_f32 v12, -v19, v17, v12
	v_div_fmas_f32 v12, v12, v21, v17
	v_div_fixup_f32 v12, v12, v16, 1.0
	v_pk_mul_f32 v[12:13], v[14:15], v[12:13]
	v_pk_add_f32 v[10:11], v[10:11], 1.0 op_sel_hi:[1,0]
	s_nop 0
	v_pk_mul_f32 v[10:11], v[10:11], v[12:13]
	v_mad_i64_i32 v[12:13], s[10:11], v23, s46, 0
	v_lshl_add_u64 v[12:13], v[12:13], 2, v[34:35]
	global_store_dwordx2 v[12:13], v[10:11], off
	s_or_b64 exec, exec, s[8:9]
	v_cmp_gt_i32_e32 vcc, s29, v22
	s_and_saveexec_b64 s[8:9], vcc
	s_cbranch_execz .LBB5_15
.LBB5_96:                               ;   in Loop: Header=BB5_17 Depth=1
	v_max_f32_e32 v6, v6, v6
	v_max_f32_e64 v14, s27, s27
	v_min_f32_e32 v10, v6, v14
	v_mul_f32_e64 v6, v10, -s26
	v_mul_f32_e32 v6, 0x3fb8aa3b, v6
	v_exp_f32_e32 v12, v6
	v_max_f32_e32 v6, v8, v8
	v_min_f32_e32 v11, v6, v14
	v_mul_f32_e64 v6, v11, -s26
	v_mul_f32_e32 v6, 0x3fb8aa3b, v6
	v_exp_f32_e32 v13, v6
	v_max_f32_e64 v15, -s27, -s27
	v_max_f32_e32 v6, v7, v7
	v_max_f32_e32 v7, v9, v9
	v_pk_add_f32 v[12:13], v[12:13], 1.0 op_sel_hi:[1,0]
	v_max_f32_e32 v6, v6, v15
	v_div_scale_f32 v8, s[10:11], v13, v13, 1.0
	v_rcp_f32_e32 v16, v8
	v_max_f32_e32 v7, v7, v15
	v_min_f32_e32 v6, v6, v14
	v_min_f32_e32 v7, v7, v14
	v_fma_f32 v9, -v8, v16, 1.0
	v_fmac_f32_e32 v16, v9, v16
	v_div_scale_f32 v9, vcc, 1.0, v13, 1.0
	v_mul_f32_e32 v14, v9, v16
	v_fma_f32 v15, -v8, v14, v9
	v_fmac_f32_e32 v14, v15, v16
	v_div_scale_f32 v15, s[10:11], v12, v12, 1.0
	v_rcp_f32_e32 v17, v15
	v_fma_f32 v8, -v8, v14, v9
	v_div_fmas_f32 v8, v8, v16, v14
	v_div_fixup_f32 v9, v8, v13, 1.0
	v_fma_f32 v8, -v15, v17, 1.0
	v_fmac_f32_e32 v17, v8, v17
	v_div_scale_f32 v8, vcc, 1.0, v12, 1.0
	v_mul_f32_e32 v13, v8, v17
	v_fma_f32 v14, -v15, v13, v8
	v_fmac_f32_e32 v13, v14, v17
	v_fma_f32 v8, -v15, v13, v8
	v_div_fmas_f32 v8, v8, v17, v13
	v_div_fixup_f32 v8, v8, v12, 1.0
	v_pk_mul_f32 v[8:9], v[10:11], v[8:9]
	v_pk_add_f32 v[6:7], v[6:7], 1.0 op_sel_hi:[1,0]
	s_nop 0
	v_pk_mul_f32 v[6:7], v[6:7], v[8:9]
	v_mad_i64_i32 v[8:9], s[10:11], v22, s46, 0
	v_lshl_add_u64 v[8:9], v[8:9], 2, v[34:35]
	global_store_dwordx2 v[8:9], v[6:7], off
	s_branch .LBB5_15
.LBB5_97:                               ;   in Loop: Header=BB5_17 Depth=1
	v_max_f32_e32 v18, v18, v18
	v_max_f32_e64 v41, s27, s27
	v_min_f32_e32 v18, v18, v41
	v_mul_f32_e32 v42, s26, v18
	v_mul_f32_e32 v42, 0xbfb8aa3b, v42
	v_exp_f32_e32 v44, v42
	v_max_f32_e64 v45, -s27, -s27
	v_max_f32_e32 v19, v19, v19
	v_max_f32_e32 v19, v19, v45
	v_add_f32_e32 v44, 1.0, v44
	v_div_scale_f32 v46, s[50:51], v44, v44, 1.0
	v_rcp_f32_e32 v47, v46
	v_min_f32_e32 v19, v19, v41
	v_add_f32_e32 v19, 1.0, v19
	v_lshl_add_u64 v[42:43], v[32:33], 2, v[28:29]
	v_fma_f32 v41, -v46, v47, 1.0
	v_fmac_f32_e32 v47, v41, v47
	v_div_scale_f32 v41, vcc, 1.0, v44, 1.0
	v_mul_f32_e32 v45, v41, v47
	v_fma_f32 v48, -v46, v45, v41
	v_fmac_f32_e32 v45, v48, v47
	v_fma_f32 v41, -v46, v45, v41
	v_div_fmas_f32 v41, v41, v47, v45
	v_div_fixup_f32 v41, v41, v44, 1.0
	v_mul_f32_e32 v18, v18, v41
	v_mul_f32_e32 v18, v19, v18
	global_store_dword v[42:43], v18, off nt
	s_or_b64 exec, exec, s[42:43]
	s_and_saveexec_b64 s[42:43], s[0:1]
	s_cbranch_execz .LBB5_78
.LBB5_98:                               ;   in Loop: Header=BB5_17 Depth=1
	v_max_f32_e32 v14, v14, v14
	v_max_f32_e64 v41, s27, s27
	v_min_f32_e32 v14, v14, v41
	v_mul_f32_e32 v18, s26, v14
	v_mul_f32_e32 v18, 0xbfb8aa3b, v18
	v_exp_f32_e32 v42, v18
	v_max_f32_e64 v43, -s27, -s27
	v_max_f32_e32 v15, v15, v15
	v_max_f32_e32 v15, v15, v43
	v_add_f32_e32 v42, 1.0, v42
	v_div_scale_f32 v44, s[50:51], v42, v42, 1.0
	v_rcp_f32_e32 v45, v44
	v_min_f32_e32 v15, v15, v41
	v_add_f32_e32 v15, 1.0, v15
	v_lshl_add_u64 v[18:19], v[32:33], 2, v[26:27]
	v_fma_f32 v41, -v44, v45, 1.0
	v_fmac_f32_e32 v45, v41, v45
	v_div_scale_f32 v41, vcc, 1.0, v42, 1.0
	v_mul_f32_e32 v43, v41, v45
	v_fma_f32 v46, -v44, v43, v41
	v_fmac_f32_e32 v43, v46, v45
	v_fma_f32 v41, -v44, v43, v41
	v_div_fmas_f32 v41, v41, v45, v43
	v_div_fixup_f32 v41, v41, v42, 1.0
	v_mul_f32_e32 v14, v14, v41
	v_mul_f32_e32 v14, v15, v14
	global_store_dword v[18:19], v14, off nt
	s_or_b64 exec, exec, s[42:43]
	s_and_saveexec_b64 s[42:43], s[10:11]
	s_cbranch_execz .LBB5_79
.LBB5_99:                               ;   in Loop: Header=BB5_17 Depth=1
	v_max_f32_e32 v10, v10, v10
	v_max_f32_e64 v18, s27, s27
	v_min_f32_e32 v10, v10, v18
	v_mul_f32_e32 v14, s26, v10
	v_mul_f32_e32 v14, 0xbfb8aa3b, v14
	v_exp_f32_e32 v19, v14
	v_max_f32_e64 v41, -s27, -s27
	v_max_f32_e32 v11, v11, v11
	v_max_f32_e32 v11, v11, v41
	v_add_f32_e32 v19, 1.0, v19
	v_div_scale_f32 v42, s[50:51], v19, v19, 1.0
	v_rcp_f32_e32 v43, v42
	v_min_f32_e32 v11, v11, v18
	v_add_f32_e32 v11, 1.0, v11
	v_lshl_add_u64 v[14:15], v[32:33], 2, v[24:25]
	v_fma_f32 v18, -v42, v43, 1.0
	v_fmac_f32_e32 v43, v18, v43
	v_div_scale_f32 v18, vcc, 1.0, v19, 1.0
	v_mul_f32_e32 v41, v18, v43
	v_fma_f32 v44, -v42, v41, v18
	v_fmac_f32_e32 v41, v44, v43
	v_fma_f32 v18, -v42, v41, v18
	v_div_fmas_f32 v18, v18, v43, v41
	v_div_fixup_f32 v18, v18, v19, 1.0
	v_mul_f32_e32 v10, v10, v18
	v_mul_f32_e32 v10, v11, v10
	global_store_dword v[14:15], v10, off nt
	s_or_b64 exec, exec, s[42:43]
	s_and_b64 exec, exec, s[8:9]
	s_cbranch_execnz .LBB5_80
	s_branch .LBB5_81
.LBB5_100:                              ;   in Loop: Header=BB5_17 Depth=1
	v_max_f32_e32 v6, v20, v20
	v_max_f32_e64 v10, s27, s27
	v_min_f32_e32 v11, v6, v10
	v_mul_f32_e32 v6, s26, v11
	v_mul_f32_e32 v6, 0xbfb8aa3b, v6
	v_exp_f32_e32 v14, v6
	v_max_f32_e64 v15, -s27, -s27
	v_max_f32_e32 v20, v21, v21
	v_max_f32_e32 v15, v20, v15
	v_add_f32_e32 v14, 1.0, v14
	v_div_scale_f32 v18, s[14:15], v14, v14, 1.0
	v_rcp_f32_e32 v19, v18
	v_min_f32_e32 v10, v15, v10
	v_add_f32_e32 v10, 1.0, v10
	v_lshl_add_u64 v[6:7], v[36:37], 2, v[28:29]
	v_fma_f32 v15, -v18, v19, 1.0
	v_fmac_f32_e32 v19, v15, v19
	v_div_scale_f32 v15, vcc, 1.0, v14, 1.0
	v_mul_f32_e32 v20, v15, v19
	v_fma_f32 v21, -v18, v20, v15
	v_fmac_f32_e32 v20, v21, v19
	v_fma_f32 v15, -v18, v20, v15
	v_div_fmas_f32 v15, v15, v19, v20
	v_div_fixup_f32 v14, v15, v14, 1.0
	v_mul_f32_e32 v11, v11, v14
	v_mul_f32_e32 v10, v10, v11
	global_store_dword v[6:7], v10, off nt
	s_or_b64 exec, exec, s[42:43]
	s_and_saveexec_b64 s[14:15], s[0:1]
	s_cbranch_execz .LBB5_84
.LBB5_101:                              ;   in Loop: Header=BB5_17 Depth=1
	v_max_f32_e32 v6, v16, v16
	v_max_f32_e64 v10, s27, s27
	v_min_f32_e32 v11, v6, v10
	v_mul_f32_e32 v6, s26, v11
	v_mul_f32_e32 v6, 0xbfb8aa3b, v6
	v_exp_f32_e32 v14, v6
	v_max_f32_e64 v15, -s27, -s27
	v_max_f32_e32 v17, v17, v17
	v_max_f32_e32 v15, v17, v15
	v_add_f32_e32 v14, 1.0, v14
	v_div_scale_f32 v16, s[0:1], v14, v14, 1.0
	v_rcp_f32_e32 v18, v16
	v_min_f32_e32 v10, v15, v10
	v_add_f32_e32 v10, 1.0, v10
	v_lshl_add_u64 v[6:7], v[36:37], 2, v[26:27]
	v_fma_f32 v15, -v16, v18, 1.0
	v_fmac_f32_e32 v18, v15, v18
	v_div_scale_f32 v15, vcc, 1.0, v14, 1.0
	v_mul_f32_e32 v17, v15, v18
	v_fma_f32 v19, -v16, v17, v15
	v_fmac_f32_e32 v17, v19, v18
	v_fma_f32 v15, -v16, v17, v15
	v_div_fmas_f32 v15, v15, v18, v17
	v_div_fixup_f32 v14, v15, v14, 1.0
	v_mul_f32_e32 v11, v11, v14
	v_mul_f32_e32 v10, v10, v11
	global_store_dword v[6:7], v10, off nt
	s_or_b64 exec, exec, s[14:15]
	s_and_saveexec_b64 s[0:1], s[10:11]
	s_cbranch_execz .LBB5_85
.LBB5_102:                              ;   in Loop: Header=BB5_17 Depth=1
	v_max_f32_e32 v6, v12, v12
	v_max_f32_e64 v10, s27, s27
	v_min_f32_e32 v11, v6, v10
	v_mul_f32_e32 v6, s26, v11
	v_mul_f32_e32 v6, 0xbfb8aa3b, v6
	v_exp_f32_e32 v12, v6
	v_max_f32_e64 v14, -s27, -s27
	v_max_f32_e32 v13, v13, v13
	v_max_f32_e32 v13, v13, v14
	v_add_f32_e32 v12, 1.0, v12
	v_div_scale_f32 v15, s[10:11], v12, v12, 1.0
	v_rcp_f32_e32 v16, v15
	v_min_f32_e32 v10, v13, v10
	v_add_f32_e32 v10, 1.0, v10
	v_lshl_add_u64 v[6:7], v[36:37], 2, v[24:25]
	v_fma_f32 v13, -v15, v16, 1.0
	v_fmac_f32_e32 v16, v13, v16
	v_div_scale_f32 v13, vcc, 1.0, v12, 1.0
	v_mul_f32_e32 v14, v13, v16
	v_fma_f32 v17, -v15, v14, v13
	v_fmac_f32_e32 v14, v17, v16
	v_fma_f32 v13, -v15, v14, v13
	v_div_fmas_f32 v13, v13, v16, v14
	v_div_fixup_f32 v12, v13, v12, 1.0
	v_mul_f32_e32 v11, v11, v12
	v_mul_f32_e32 v10, v10, v11
	global_store_dword v[6:7], v10, off nt
	s_or_b64 exec, exec, s[0:1]
	s_and_b64 exec, exec, s[8:9]
	s_cbranch_execnz .LBB5_86
	s_branch .LBB5_87
.LBB5_103:
	s_endpgm
	.section	.rodata,"a",@progbits
	.p2align	6, 0x0
	.amdhsa_kernel _Z27moe_mlp1_swiglu_mfma_kernelPKiiiPKfPfPK14__hip_bfloat16S6_iixxff
		.amdhsa_group_segment_fixed_size 17408
		.amdhsa_private_segment_fixed_size 0
		.amdhsa_kernarg_size 336
		.amdhsa_user_sgpr_count 2
		.amdhsa_user_sgpr_dispatch_ptr 0
		.amdhsa_user_sgpr_queue_ptr 0
		.amdhsa_user_sgpr_kernarg_segment_ptr 1
		.amdhsa_user_sgpr_dispatch_id 0
		.amdhsa_user_sgpr_kernarg_preload_length 0
		.amdhsa_user_sgpr_kernarg_preload_offset 0
		.amdhsa_user_sgpr_private_segment_size 0
		.amdhsa_uses_dynamic_stack 0
		.amdhsa_enable_private_segment 0
		.amdhsa_system_sgpr_workgroup_id_x 1
		.amdhsa_system_sgpr_workgroup_id_y 1
		.amdhsa_system_sgpr_workgroup_id_z 1
		.amdhsa_system_sgpr_workgroup_info 0
		.amdhsa_system_vgpr_workitem_id 0
		.amdhsa_next_free_vgpr 68
		.amdhsa_next_free_sgpr 52
		.amdhsa_accum_offset 68
		.amdhsa_reserve_vcc 1
		.amdhsa_float_round_mode_32 0
		.amdhsa_float_round_mode_16_64 0
		.amdhsa_float_denorm_mode_32 3
		.amdhsa_float_denorm_mode_16_64 3
		.amdhsa_dx10_clamp 1
		.amdhsa_ieee_mode 1
		.amdhsa_fp16_overflow 0
		.amdhsa_tg_split 0
		.amdhsa_exception_fp_ieee_invalid_op 0
		.amdhsa_exception_fp_denorm_src 0
		.amdhsa_exception_fp_ieee_div_zero 0
		.amdhsa_exception_fp_ieee_overflow 0
		.amdhsa_exception_fp_ieee_underflow 0
		.amdhsa_exception_fp_ieee_inexact 0
		.amdhsa_exception_int_div_zero 0
	.end_amdhsa_kernel
	.text
.Lfunc_end5:
	.size	_Z27moe_mlp1_swiglu_mfma_kernelPKiiiPKfPfPK14__hip_bfloat16S6_iixxff, .Lfunc_end5-_Z27moe_mlp1_swiglu_mfma_kernelPKiiiPKfPfPK14__hip_bfloat16S6_iixxff
                                        ; -- End function
	.set _Z27moe_mlp1_swiglu_mfma_kernelPKiiiPKfPfPK14__hip_bfloat16S6_iixxff.num_vgpr, 68
	.set _Z27moe_mlp1_swiglu_mfma_kernelPKiiiPKfPfPK14__hip_bfloat16S6_iixxff.num_agpr, 0
	.set _Z27moe_mlp1_swiglu_mfma_kernelPKiiiPKfPfPK14__hip_bfloat16S6_iixxff.numbered_sgpr, 52
	.set _Z27moe_mlp1_swiglu_mfma_kernelPKiiiPKfPfPK14__hip_bfloat16S6_iixxff.num_named_barrier, 0
	.set _Z27moe_mlp1_swiglu_mfma_kernelPKiiiPKfPfPK14__hip_bfloat16S6_iixxff.private_seg_size, 0
	.set _Z27moe_mlp1_swiglu_mfma_kernelPKiiiPKfPfPK14__hip_bfloat16S6_iixxff.uses_vcc, 1
	.set _Z27moe_mlp1_swiglu_mfma_kernelPKiiiPKfPfPK14__hip_bfloat16S6_iixxff.uses_flat_scratch, 0
	.set _Z27moe_mlp1_swiglu_mfma_kernelPKiiiPKfPfPK14__hip_bfloat16S6_iixxff.has_dyn_sized_stack, 0
	.set _Z27moe_mlp1_swiglu_mfma_kernelPKiiiPKfPfPK14__hip_bfloat16S6_iixxff.has_recursion, 0
	.set _Z27moe_mlp1_swiglu_mfma_kernelPKiiiPKfPfPK14__hip_bfloat16S6_iixxff.has_indirect_call, 0
	.section	.AMDGPU.csdata,"",@progbits
; Kernel info:
; codeLenInByte = 5408
; TotalNumSgprs: 58
; NumVgprs: 68
; NumAgprs: 0
; TotalNumVgprs: 68
; ScratchSize: 0
; MemoryBound: 0
; FloatMode: 240
; IeeeMode: 1
; LDSByteSize: 17408 bytes/workgroup (compile time only)
; SGPRBlocks: 7
; VGPRBlocks: 8
; NumSGPRsForWavesPerEU: 58
; NumVGPRsForWavesPerEU: 68
; AccumOffset: 68
; Occupancy: 7
; WaveLimiterHint : 1
; COMPUTE_PGM_RSRC2:SCRATCH_EN: 0
; COMPUTE_PGM_RSRC2:USER_SGPR: 2
; COMPUTE_PGM_RSRC2:TRAP_HANDLER: 0
; COMPUTE_PGM_RSRC2:TGID_X_EN: 1
; COMPUTE_PGM_RSRC2:TGID_Y_EN: 1
; COMPUTE_PGM_RSRC2:TGID_Z_EN: 1
; COMPUTE_PGM_RSRC2:TIDIG_COMP_CNT: 0
; COMPUTE_PGM_RSRC3_GFX90A:ACCUM_OFFSET: 16
; COMPUTE_PGM_RSRC3_GFX90A:TG_SPLIT: 0
	.text
	.protected	_Z28moe_mlp2_scatter_mfma_kernelPKiiiPKfS0_S2_PfPK14__hip_bfloat16S6_iixx ; -- Begin function _Z28moe_mlp2_scatter_mfma_kernelPKiiiPKfS0_S2_PfPK14__hip_bfloat16S6_iixx
	.globl	_Z28moe_mlp2_scatter_mfma_kernelPKiiiPKfS0_S2_PfPK14__hip_bfloat16S6_iixx
	.p2align	8
	.type	_Z28moe_mlp2_scatter_mfma_kernelPKiiiPKfS0_S2_PfPK14__hip_bfloat16S6_iixx,@function
_Z28moe_mlp2_scatter_mfma_kernelPKiiiPKfS0_S2_PfPK14__hip_bfloat16S6_iixx: ; @_Z28moe_mlp2_scatter_mfma_kernelPKiiiPKfS0_S2_PfPK14__hip_bfloat16S6_iixx
; %bb.0:
	s_load_dwordx2 s[6:7], s[0:1], 0x8
	s_waitcnt lgkmcnt(0)
	s_cmp_ge_i32 s4, s7
	s_cbranch_scc1 .LBB6_120
; %bb.1:
	s_load_dwordx2 s[8:9], s[0:1], 0x0
	s_load_dwordx2 s[22:23], s[0:1], 0x40
	s_add_i32 s4, s6, s4
	s_mul_i32 s4, s4, 3
	s_ashr_i32 s5, s4, 31
	s_lshl_b64 s[4:5], s[4:5], 2
	s_waitcnt lgkmcnt(0)
	s_add_u32 s6, s8, s4
	s_addc_u32 s7, s9, s5
	s_load_dwordx2 s[34:35], s[6:7], 0x4
	s_cmp_eq_u32 s23, 0
	s_cselect_b64 s[4:5], -1, 0
	s_waitcnt lgkmcnt(0)
	s_cmp_eq_u32 s35, 0
	s_cselect_b64 s[8:9], -1, 0
	s_or_b64 s[4:5], s[4:5], s[8:9]
	s_cmp_eq_u32 s22, 0
	s_cselect_b64 s[8:9], -1, 0
	s_or_b64 s[4:5], s[8:9], s[4:5]
	s_and_b64 vcc, exec, s[4:5]
	s_cbranch_vccnz .LBB6_120
; %bb.2:
	s_load_dword s18, s[6:7], 0x0
	s_load_dwordx2 s[4:5], s[0:1], 0x38
	s_load_dwordx4 s[12:15], s[0:1], 0x48
	s_mov_b64 s[8:9], 0
	s_waitcnt lgkmcnt(0)
	s_ashr_i32 s19, s18, 31
	s_cmp_eq_u64 s[4:5], 0
	s_cbranch_scc1 .LBB6_4
; %bb.3:
	s_mul_i32 s6, s14, s19
	s_mul_hi_u32 s7, s14, s18
	s_add_i32 s6, s7, s6
	s_mul_i32 s7, s15, s18
	s_add_i32 s7, s6, s7
	s_mul_i32 s6, s14, s18
	s_lshl_b64 s[6:7], s[6:7], 1
	s_add_u32 s8, s4, s6
	s_addc_u32 s9, s5, s7
.LBB6_4:
	s_lshl_b32 s14, s3, 8
	s_cmp_lt_i32 s14, s23
	s_cselect_b64 s[4:5], -1, 0
	s_lshl_b32 s15, s2, 6
	s_cmp_lt_i32 s15, s35
	s_cselect_b64 s[6:7], -1, 0
	s_and_b64 s[4:5], s[4:5], s[6:7]
	s_andn2_b64 vcc, exec, s[4:5]
	s_cbranch_vccnz .LBB6_120
; %bb.5:
	v_lshrrev_b32_e32 v2, 2, v0
	v_and_b32_e32 v1, 0xf0, v2
	v_or_b32_e32 v6, s14, v1
	v_and_b32_e32 v48, 12, v2
	v_or_b32_e32 v30, v6, v48
	s_cmp_lg_u64 s[8:9], 0
	s_cselect_b64 s[10:11], -1, 0
	v_cmp_gt_i32_e64 s[16:17], s23, v30
	v_mov_b32_e32 v2, 0
	s_and_b64 s[6:7], s[10:11], s[16:17]
	v_mov_b32_e32 v3, v2
	v_mov_b32_e32 v4, v2
	;; [unrolled: 1-line block ×3, first 2 shown]
	s_and_saveexec_b64 s[4:5], s[6:7]
	s_cbranch_execz .LBB6_7
; %bb.6:
	v_ashrrev_i32_e32 v31, 31, v30
	v_lshl_add_u64 v[4:5], v[30:31], 1, s[8:9]
	global_load_ushort v3, v[4:5], off
	v_mov_b32_e32 v9, v2
	v_mov_b32_e32 v10, v2
	;; [unrolled: 1-line block ×3, first 2 shown]
	s_waitcnt vmcnt(0)
	v_lshlrev_b32_e32 v8, 16, v3
	v_mov_b64_e32 v[2:3], v[8:9]
	v_mov_b64_e32 v[4:5], v[10:11]
.LBB6_7:
	s_or_b64 exec, exec, s[4:5]
	v_or_b32_e32 v7, 1, v30
	v_cmp_gt_i32_e64 s[20:21], s23, v7
	s_and_b64 s[6:7], s[10:11], s[20:21]
	s_and_saveexec_b64 s[4:5], s[6:7]
	s_cbranch_execz .LBB6_9
; %bb.8:
	v_ashrrev_i32_e32 v31, 31, v30
	v_lshl_add_u64 v[8:9], v[30:31], 1, s[8:9]
	global_load_ushort v3, v[8:9], off offset:2
	s_waitcnt vmcnt(0)
	v_lshlrev_b32_e32 v3, 16, v3
.LBB6_9:
	s_or_b64 exec, exec, s[4:5]
	v_or_b32_e32 v7, 2, v30
	v_cmp_gt_i32_e64 s[4:5], s23, v7
	s_and_b64 s[24:25], s[10:11], s[4:5]
	s_and_saveexec_b64 s[6:7], s[24:25]
	s_cbranch_execz .LBB6_11
; %bb.10:
	v_ashrrev_i32_e32 v31, 31, v30
	v_lshl_add_u64 v[8:9], v[30:31], 1, s[8:9]
	global_load_ushort v4, v[8:9], off offset:4
	s_waitcnt vmcnt(0)
	v_lshlrev_b32_e32 v4, 16, v4
.LBB6_11:
	s_or_b64 exec, exec, s[6:7]
	v_or_b32_e32 v7, 3, v30
	v_cmp_gt_i32_e32 vcc, s23, v7
	v_cmp_le_i32_e64 s[6:7], s23, v7
	s_and_b64 s[24:25], s[10:11], vcc
	s_and_saveexec_b64 s[10:11], s[24:25]
	s_cbranch_execz .LBB6_13
; %bb.12:
	v_ashrrev_i32_e32 v31, 31, v30
	v_lshl_add_u64 v[8:9], v[30:31], 1, s[8:9]
	global_load_ushort v5, v[8:9], off offset:6
	s_waitcnt vmcnt(0)
	v_lshlrev_b32_e32 v5, 16, v5
.LBB6_13:
	s_or_b64 exec, exec, s[10:11]
	s_add_i32 s3, s35, 63
	s_ashr_i32 s8, s3, 31
	s_lshr_b32 s8, s8, 26
	s_add_i32 s3, s3, s8
	s_ashr_i32 s3, s3, 6
	s_cmp_lt_u32 s35, 0xffffff82
	s_cselect_b64 s[8:9], -1, 0
	s_cmp_lt_i32 s2, s3
	s_cselect_b64 s[10:11], -1, 0
	s_and_b64 s[8:9], s[8:9], s[10:11]
	s_and_b64 vcc, exec, s[8:9]
	s_cbranch_vccz .LBB6_120
; %bb.14:
	s_load_dwordx8 s[24:31], s[0:1], 0x10
	s_add_i32 s8, s22, 63
	s_ashr_i32 s9, s8, 31
	s_lshr_b32 s9, s9, 26
	s_add_i32 s8, s8, s9
	s_mul_hi_i32 s11, s34, s22
	s_mul_i32 s10, s34, s22
	s_ashr_i32 s33, s8, 6
	s_ashr_i32 s9, s34, 31
	;; [unrolled: 1-line block ×3, first 2 shown]
	s_lshl_b64 s[10:11], s[10:11], 2
	s_mov_b32 s8, s34
	s_waitcnt lgkmcnt(0)
	s_add_u32 s10, s24, s10
	s_addc_u32 s11, s25, s11
	s_lshl_b64 s[36:37], s[8:9], 2
	s_add_u32 s26, s26, s36
	s_addc_u32 s27, s27, s37
	s_add_u32 s28, s28, s36
	s_addc_u32 s29, s29, s37
	v_lshlrev_b32_e32 v7, 2, v0
	v_and_b32_e32 v49, 15, v0
	v_and_b32_e32 v10, 60, v7
	s_cmp_gt_i32 s22, 0
	v_lshlrev_b32_e32 v8, 2, v10
	v_mov_b32_e32 v9, 0
	s_cselect_b64 s[38:39], -1, 0
	v_or_b32_e32 v6, v6, v49
	s_load_dwordx2 s[40:41], s[0:1], 0x30
	s_load_dword s34, s[0:1], 0x58
	s_max_i32 s0, s33, 1
	v_lshrrev_b32_e32 v50, 4, v0
	v_lshl_add_u64 v[32:33], s[10:11], 0, v[8:9]
	v_lshlrev_b32_e32 v7, 1, v10
	s_movk_i32 s42, 0x88
	v_cmp_gt_i32_e64 s[10:11], s23, v6
	v_lshlrev_b32_e32 v6, 1, v48
	s_lshl_b32 s48, s0, 6
	v_lshlrev_b32_e32 v8, 4, v49
	s_mul_i32 s0, s12, s19
	s_mul_hi_u32 s1, s12, s18
	v_mad_u32_u24 v51, v50, s42, v7
	v_mad_u32_u24 v52, v49, s42, v6
	v_lshl_add_u64 v[6:7], s[24:25], 0, v[8:9]
	s_mov_b64 s[24:25], 0x100
	s_add_i32 s0, s1, s0
	s_mul_i32 s1, s13, s18
	v_add3_u32 v1, s14, v1, v49
	v_lshl_add_u64 v[34:35], v[6:7], 0, s[24:25]
	s_add_i32 s1, s0, s1
	s_mul_i32 s0, s12, s18
	v_mad_i64_i32 v[6:7], s[12:13], s22, v1, 0
	v_lshlrev_b64 v[6:7], 1, v[6:7]
	v_lshrrev_b32_e32 v0, 1, v0
	v_lshl_add_u64 v[6:7], s[0:1], 1, v[6:7]
	v_and_b32_e32 v8, 24, v0
	v_lshl_add_u64 v[0:1], v[6:7], 0, v[8:9]
	s_waitcnt lgkmcnt(0)
	v_lshl_add_u64 v[0:1], s[40:41], 0, v[0:1]
	s_mov_b64 s[0:1], 0x64
	v_cndmask_b32_e64 v6, 0, 1, s[38:39]
	s_mov_b32 s47, s22
	v_cmp_gt_i32_e64 s[8:9], s22, v10
	v_ashrrev_i32_e32 v31, 31, v30
	v_add_u32_e32 v36, s15, v50
	s_lshl_b32 s49, s34, 6
	v_lshl_add_u64 v[0:1], v[0:1], 0, s[0:1]
	v_or_b32_e32 v53, 64, v10
	s_mov_b32 s50, 0x5040100
	v_cmp_ne_u32_e64 s[12:13], 1, v6
	s_mov_b32 s51, 0xffff
	s_mov_b64 s[38:39], 0x80
	s_branch .LBB6_17
.LBB6_15:                               ;   in Loop: Header=BB6_17 Depth=1
	s_or_b64 exec, exec, s[14:15]
.LBB6_16:                               ;   in Loop: Header=BB6_17 Depth=1
	s_or_b64 exec, exec, s[0:1]
	s_add_i32 s2, s34, s2
	s_cmp_lt_i32 s2, s3
	v_add_u32_e32 v36, s49, v36
	s_barrier
	s_cbranch_scc0 .LBB6_120
.LBB6_17:                               ; =>This Loop Header: Depth=1
                                        ;     Child Loop BB6_23 Depth 2
	s_lshl_b32 s42, s2, 6
	v_or_b32_e32 v8, s42, v50
	v_cmp_gt_i32_e64 s[14:15], s35, v8
	s_and_b64 s[18:19], s[14:15], s[8:9]
	v_mov_b32_e32 v6, 0
	v_mov_b32_e32 v7, 0
	s_and_saveexec_b64 s[0:1], s[18:19]
	s_cbranch_execz .LBB6_19
; %bb.18:                               ;   in Loop: Header=BB6_17 Depth=1
	v_mad_i64_i32 v[6:7], s[18:19], v8, s47, 0
	v_lshl_add_u64 v[6:7], v[6:7], 2, v[32:33]
	global_load_dwordx4 v[6:9], v[6:7], off
	s_waitcnt vmcnt(0)
	v_cvt_pk_bf16_f32 v6, v6, s0
	v_cvt_pk_bf16_f32 v7, v7, v8
	;; [unrolled: 1-line block ×3, first 2 shown]
	v_perm_b32 v6, v7, v6, s50
	v_alignbit_b32 v7, v8, v7, 16
.LBB6_19:                               ;   in Loop: Header=BB6_17 Depth=1
	s_or_b64 exec, exec, s[0:1]
	ds_write_b64 v51, v[6:7]
	v_mov_b64_e32 v[20:21], v[4:5]
	v_mov_b64_e32 v[16:17], v[4:5]
	;; [unrolled: 1-line block ×4, first 2 shown]
	s_and_b64 vcc, exec, s[12:13]
	v_mov_b64_e32 v[18:19], v[2:3]
	v_mov_b64_e32 v[14:15], v[2:3]
	;; [unrolled: 1-line block ×4, first 2 shown]
	s_waitcnt lgkmcnt(0)
	s_barrier
	s_cbranch_vccnz .LBB6_74
; %bb.20:                               ;   in Loop: Header=BB6_17 Depth=1
	v_ashrrev_i32_e32 v37, 31, v36
	v_lshl_add_u64 v[6:7], v[36:37], 2, s[36:37]
	v_mul_lo_u32 v7, s47, v7
	v_mul_lo_u32 v8, s46, v6
	v_mad_u64_u32 v[38:39], s[0:1], s47, v6, v[34:35]
	v_add3_u32 v39, v8, v39, v7
	v_mov_b64_e32 v[20:21], v[4:5]
	v_mov_b64_e32 v[16:17], v[4:5]
	;; [unrolled: 1-line block ×4, first 2 shown]
	s_mov_b32 s43, 0
	s_mov_b32 s44, 1
	s_waitcnt vmcnt(0)
	v_mov_b64_e32 v[40:41], v[0:1]
	v_mov_b64_e32 v[18:19], v[2:3]
	;; [unrolled: 1-line block ×5, first 2 shown]
	s_branch .LBB6_23
.LBB6_21:                               ;   in Loop: Header=BB6_23 Depth=2
	s_or_b64 exec, exec, s[18:19]
.LBB6_22:                               ;   in Loop: Header=BB6_23 Depth=2
	s_or_b64 exec, exec, s[0:1]
	ds_read2_b64 v[22:25], v54 offset0:8 offset1:12
	v_add_u32_e32 v26, 0x800, v54
	ds_read2_b64 v[26:29], v26 offset0:24 offset1:28
	s_add_i32 s43, s43, 64
	s_add_i32 s44, s44, 1
	s_waitcnt vmcnt(0) lgkmcnt(1)
	v_mfma_f32_16x16x16_bf16 v[18:21], v[46:47], v[22:23], v[18:21]
	v_add_u32_e32 v22, 0x1000, v54
	ds_read2_b64 v[56:59], v22 offset0:40 offset1:44
	v_add_u32_e32 v22, 0x1800, v54
	s_waitcnt lgkmcnt(1)
	v_mfma_f32_16x16x16_bf16 v[10:13], v[46:47], v[26:27], v[10:13]
	v_lshl_add_u64 v[38:39], v[38:39], 0, s[24:25]
	v_lshl_add_u64 v[40:41], v[40:41], 0, s[38:39]
	s_cmp_eq_u32 s48, s43
	s_waitcnt lgkmcnt(0)
	v_mfma_f32_16x16x16_bf16 v[6:9], v[46:47], v[56:57], v[6:9]
	ds_read2_b64 v[54:57], v22 offset0:56 offset1:60
	s_waitcnt lgkmcnt(0)
	s_barrier
	v_mfma_f32_16x16x16_bf16 v[60:63], v[46:47], v[54:55], v[14:17]
	v_mfma_f32_16x16x16_bf16 v[18:21], v[44:45], v[24:25], v[18:21]
	;; [unrolled: 1-line block ×5, first 2 shown]
	s_cbranch_scc1 .LBB6_74
.LBB6_23:                               ;   Parent Loop BB6_17 Depth=1
                                        ; =>  This Inner Loop Header: Depth=2
	s_add_i32 s0, s44, -1
	s_and_b32 s45, s0, 1
	s_cmp_ge_i32 s44, s33
	s_cbranch_scc1 .LBB6_27
; %bb.24:                               ;   in Loop: Header=BB6_23 Depth=2
	v_add_u32_e32 v22, s43, v53
	v_cmp_gt_i32_e32 vcc, s22, v22
	s_and_b64 s[18:19], s[14:15], vcc
	v_mov_b32_e32 v22, 0
	v_mov_b32_e32 v23, 0
	s_and_saveexec_b64 s[0:1], s[18:19]
	s_cbranch_execz .LBB6_26
; %bb.25:                               ;   in Loop: Header=BB6_23 Depth=2
	global_load_dwordx4 v[22:25], v[38:39], off
	s_waitcnt vmcnt(0)
	v_cvt_pk_bf16_f32 v22, v22, s0
	v_cvt_pk_bf16_f32 v23, v23, v24
	;; [unrolled: 1-line block ×3, first 2 shown]
	v_perm_b32 v22, v23, v22, s50
	v_alignbit_b32 v23, v24, v23, 16
.LBB6_26:                               ;   in Loop: Header=BB6_23 Depth=2
	s_or_b64 exec, exec, s[0:1]
	s_xor_b32 s0, s45, 1
	s_mulk_i32 s0, 0x2200
	v_add_u32_e32 v24, s0, v51
	ds_write_b64 v24, v[22:23]
.LBB6_27:                               ;   in Loop: Header=BB6_23 Depth=2
	v_add_u32_e32 v37, s43, v48
	v_mov_b32_e32 v42, 0
	v_mov_b32_e32 v26, 0
	;; [unrolled: 1-line block ×3, first 2 shown]
	s_and_saveexec_b64 s[0:1], s[10:11]
	s_cbranch_execz .LBB6_39
; %bb.28:                               ;   in Loop: Header=BB6_23 Depth=2
	v_add_u32_e32 v22, 3, v37
	v_cmp_le_i32_e32 vcc, s22, v22
                                        ; implicit-def: $vgpr27
	s_and_saveexec_b64 s[18:19], vcc
	s_xor_b64 s[18:19], exec, s[18:19]
	s_cbranch_execz .LBB6_36
; %bb.29:                               ;   in Loop: Header=BB6_23 Depth=2
	v_cmp_gt_i32_e32 vcc, s22, v37
	v_mov_b32_e32 v27, 0
	v_mov_b32_e32 v26, 0
	s_and_saveexec_b64 s[40:41], vcc
	s_cbranch_execz .LBB6_31
; %bb.30:                               ;   in Loop: Header=BB6_23 Depth=2
	global_load_ushort v22, v[40:41], off offset:-100
	s_waitcnt vmcnt(0)
	v_and_b32_e32 v26, 0xffff, v22
.LBB6_31:                               ;   in Loop: Header=BB6_23 Depth=2
	s_or_b64 exec, exec, s[40:41]
	v_add_u32_e32 v22, 1, v37
	v_cmp_gt_i32_e32 vcc, s22, v22
	s_and_saveexec_b64 s[40:41], vcc
	s_cbranch_execz .LBB6_33
; %bb.32:                               ;   in Loop: Header=BB6_23 Depth=2
	global_load_ushort v22, v[40:41], off offset:-98
	s_waitcnt vmcnt(0)
	v_perm_b32 v26, v22, v26, s50
.LBB6_33:                               ;   in Loop: Header=BB6_23 Depth=2
	s_or_b64 exec, exec, s[40:41]
	v_add_u32_e32 v22, 2, v37
	v_cmp_gt_i32_e32 vcc, s22, v22
	s_and_saveexec_b64 s[40:41], vcc
	s_cbranch_execz .LBB6_35
; %bb.34:                               ;   in Loop: Header=BB6_23 Depth=2
	global_load_ushort v22, v[40:41], off offset:-96
	s_waitcnt vmcnt(0)
	v_bfi_b32 v27, s51, v22, v27
.LBB6_35:                               ;   in Loop: Header=BB6_23 Depth=2
	s_or_b64 exec, exec, s[40:41]
.LBB6_36:                               ;   in Loop: Header=BB6_23 Depth=2
	s_andn2_saveexec_b64 s[18:19], s[18:19]
	s_cbranch_execz .LBB6_38
; %bb.37:                               ;   in Loop: Header=BB6_23 Depth=2
	global_load_dwordx2 v[26:27], v[40:41], off offset:-100
.LBB6_38:                               ;   in Loop: Header=BB6_23 Depth=2
	s_or_b64 exec, exec, s[18:19]
.LBB6_39:                               ;   in Loop: Header=BB6_23 Depth=2
	s_or_b64 exec, exec, s[0:1]
	v_mov_b32_e32 v43, 0
	s_and_saveexec_b64 s[0:1], s[10:11]
	s_cbranch_execz .LBB6_51
; %bb.40:                               ;   in Loop: Header=BB6_23 Depth=2
	v_add_u32_e32 v22, 19, v37
	v_cmp_le_i32_e32 vcc, s22, v22
                                        ; implicit-def: $vgpr43
	s_and_saveexec_b64 s[18:19], vcc
	s_xor_b64 s[18:19], exec, s[18:19]
	s_cbranch_execz .LBB6_48
; %bb.41:                               ;   in Loop: Header=BB6_23 Depth=2
	v_add_u32_e32 v22, 16, v37
	v_cmp_gt_i32_e32 vcc, s22, v22
	v_mov_b32_e32 v43, 0
	v_mov_b32_e32 v42, 0
	s_and_saveexec_b64 s[40:41], vcc
	s_cbranch_execz .LBB6_43
; %bb.42:                               ;   in Loop: Header=BB6_23 Depth=2
	global_load_ushort v22, v[40:41], off offset:-68
	s_waitcnt vmcnt(0)
	v_and_b32_e32 v42, 0xffff, v22
.LBB6_43:                               ;   in Loop: Header=BB6_23 Depth=2
	s_or_b64 exec, exec, s[40:41]
	v_add_u32_e32 v22, 17, v37
	v_cmp_gt_i32_e32 vcc, s22, v22
	s_and_saveexec_b64 s[40:41], vcc
	s_cbranch_execz .LBB6_45
; %bb.44:                               ;   in Loop: Header=BB6_23 Depth=2
	global_load_ushort v22, v[40:41], off offset:-66
	s_waitcnt vmcnt(0)
	v_perm_b32 v42, v22, v42, s50
.LBB6_45:                               ;   in Loop: Header=BB6_23 Depth=2
	s_or_b64 exec, exec, s[40:41]
	v_add_u32_e32 v22, 18, v37
	v_cmp_gt_i32_e32 vcc, s22, v22
	s_and_saveexec_b64 s[40:41], vcc
	s_cbranch_execz .LBB6_47
; %bb.46:                               ;   in Loop: Header=BB6_23 Depth=2
	global_load_ushort v22, v[40:41], off offset:-64
	s_waitcnt vmcnt(0)
	v_bfi_b32 v43, s51, v22, v43
.LBB6_47:                               ;   in Loop: Header=BB6_23 Depth=2
	s_or_b64 exec, exec, s[40:41]
.LBB6_48:                               ;   in Loop: Header=BB6_23 Depth=2
	s_andn2_saveexec_b64 s[18:19], s[18:19]
	s_cbranch_execz .LBB6_50
; %bb.49:                               ;   in Loop: Header=BB6_23 Depth=2
	global_load_dwordx2 v[42:43], v[40:41], off offset:-68
.LBB6_50:                               ;   in Loop: Header=BB6_23 Depth=2
	s_or_b64 exec, exec, s[18:19]
.LBB6_51:                               ;   in Loop: Header=BB6_23 Depth=2
	s_or_b64 exec, exec, s[0:1]
	s_mulk_i32 s45, 0x2200
	v_add_u32_e32 v54, s45, v52
	ds_read_b64 v[22:23], v54
	ds_read_b64 v[24:25], v54 offset:2176
	ds_read_b64 v[28:29], v54 offset:4352
	;; [unrolled: 1-line block ×3, first 2 shown]
	v_mov_b32_e32 v44, 0
	s_waitcnt vmcnt(0) lgkmcnt(3)
	v_mfma_f32_16x16x16_bf16 v[18:21], v[26:27], v[22:23], v[18:21]
	v_mov_b32_e32 v46, 0
	v_mov_b32_e32 v47, 0
	s_waitcnt lgkmcnt(2)
	v_mfma_f32_16x16x16_bf16 v[14:17], v[26:27], v[24:25], v[14:17]
	s_waitcnt lgkmcnt(1)
	v_mfma_f32_16x16x16_bf16 v[22:25], v[26:27], v[28:29], v[10:13]
	;; [unrolled: 2-line block ×3, first 2 shown]
	s_and_saveexec_b64 s[0:1], s[10:11]
	s_cbranch_execz .LBB6_63
; %bb.52:                               ;   in Loop: Header=BB6_23 Depth=2
	s_nop 0
	v_add_u32_e32 v6, 35, v37
	v_cmp_le_i32_e32 vcc, s22, v6
                                        ; implicit-def: $vgpr47
	s_and_saveexec_b64 s[18:19], vcc
	s_xor_b64 s[18:19], exec, s[18:19]
	s_cbranch_execz .LBB6_60
; %bb.53:                               ;   in Loop: Header=BB6_23 Depth=2
	v_add_u32_e32 v6, 32, v37
	v_cmp_gt_i32_e32 vcc, s22, v6
	v_mov_b32_e32 v47, 0
	v_mov_b32_e32 v46, 0
	s_and_saveexec_b64 s[40:41], vcc
	s_cbranch_execz .LBB6_55
; %bb.54:                               ;   in Loop: Header=BB6_23 Depth=2
	global_load_ushort v6, v[40:41], off offset:-36
	s_waitcnt vmcnt(0)
	v_and_b32_e32 v46, 0xffff, v6
.LBB6_55:                               ;   in Loop: Header=BB6_23 Depth=2
	s_or_b64 exec, exec, s[40:41]
	v_add_u32_e32 v6, 33, v37
	v_cmp_gt_i32_e32 vcc, s22, v6
	s_and_saveexec_b64 s[40:41], vcc
	s_cbranch_execz .LBB6_57
; %bb.56:                               ;   in Loop: Header=BB6_23 Depth=2
	global_load_ushort v6, v[40:41], off offset:-34
	s_waitcnt vmcnt(0)
	v_perm_b32 v46, v6, v46, s50
.LBB6_57:                               ;   in Loop: Header=BB6_23 Depth=2
	s_or_b64 exec, exec, s[40:41]
	v_add_u32_e32 v6, 34, v37
	v_cmp_gt_i32_e32 vcc, s22, v6
	s_and_saveexec_b64 s[40:41], vcc
	s_cbranch_execz .LBB6_59
; %bb.58:                               ;   in Loop: Header=BB6_23 Depth=2
	global_load_ushort v6, v[40:41], off offset:-32
	s_waitcnt vmcnt(0)
	v_bfi_b32 v47, s51, v6, v47
.LBB6_59:                               ;   in Loop: Header=BB6_23 Depth=2
	s_or_b64 exec, exec, s[40:41]
.LBB6_60:                               ;   in Loop: Header=BB6_23 Depth=2
	s_andn2_saveexec_b64 s[18:19], s[18:19]
	s_cbranch_execz .LBB6_62
; %bb.61:                               ;   in Loop: Header=BB6_23 Depth=2
	global_load_dwordx2 v[46:47], v[40:41], off offset:-36
.LBB6_62:                               ;   in Loop: Header=BB6_23 Depth=2
	s_or_b64 exec, exec, s[18:19]
.LBB6_63:                               ;   in Loop: Header=BB6_23 Depth=2
	s_or_b64 exec, exec, s[0:1]
	ds_read_b64 v[6:7], v54 offset:32
	ds_read_b64 v[8:9], v54 offset:2208
	;; [unrolled: 1-line block ×4, first 2 shown]
	v_mov_b32_e32 v45, 0
	s_waitcnt lgkmcnt(3)
	v_mfma_f32_16x16x16_bf16 v[18:21], v[42:43], v[6:7], v[18:21]
	s_waitcnt lgkmcnt(2)
	v_mfma_f32_16x16x16_bf16 v[10:13], v[42:43], v[8:9], v[14:17]
	;; [unrolled: 2-line block ×4, first 2 shown]
	s_and_saveexec_b64 s[0:1], s[10:11]
	s_cbranch_execz .LBB6_22
; %bb.64:                               ;   in Loop: Header=BB6_23 Depth=2
	v_add_u32_e32 v22, 51, v37
	v_cmp_le_i32_e32 vcc, s22, v22
                                        ; implicit-def: $vgpr45
	s_and_saveexec_b64 s[18:19], vcc
	s_xor_b64 s[18:19], exec, s[18:19]
	s_cbranch_execz .LBB6_72
; %bb.65:                               ;   in Loop: Header=BB6_23 Depth=2
	v_add_u32_e32 v22, 48, v37
	v_cmp_gt_i32_e32 vcc, s22, v22
	v_mov_b32_e32 v45, 0
	v_mov_b32_e32 v44, 0
	s_and_saveexec_b64 s[40:41], vcc
	s_cbranch_execz .LBB6_67
; %bb.66:                               ;   in Loop: Header=BB6_23 Depth=2
	global_load_ushort v22, v[40:41], off offset:-4
	s_waitcnt vmcnt(0)
	v_and_b32_e32 v44, 0xffff, v22
.LBB6_67:                               ;   in Loop: Header=BB6_23 Depth=2
	s_or_b64 exec, exec, s[40:41]
	v_add_u32_e32 v22, 49, v37
	v_cmp_gt_i32_e32 vcc, s22, v22
	s_and_saveexec_b64 s[40:41], vcc
	s_cbranch_execz .LBB6_69
; %bb.68:                               ;   in Loop: Header=BB6_23 Depth=2
	global_load_ushort v22, v[40:41], off offset:-2
	s_waitcnt vmcnt(0)
	v_perm_b32 v44, v22, v44, s50
.LBB6_69:                               ;   in Loop: Header=BB6_23 Depth=2
	s_or_b64 exec, exec, s[40:41]
	v_add_u32_e32 v22, 50, v37
	v_cmp_gt_i32_e32 vcc, s22, v22
	s_and_saveexec_b64 s[40:41], vcc
	s_cbranch_execz .LBB6_71
; %bb.70:                               ;   in Loop: Header=BB6_23 Depth=2
	global_load_ushort v22, v[40:41], off
	s_waitcnt vmcnt(0)
	v_bfi_b32 v45, s51, v22, v45
.LBB6_71:                               ;   in Loop: Header=BB6_23 Depth=2
	s_or_b64 exec, exec, s[40:41]
.LBB6_72:                               ;   in Loop: Header=BB6_23 Depth=2
	s_andn2_saveexec_b64 s[18:19], s[18:19]
	s_cbranch_execz .LBB6_21
; %bb.73:                               ;   in Loop: Header=BB6_23 Depth=2
	global_load_dwordx2 v[44:45], v[40:41], off offset:-4
	s_branch .LBB6_21
.LBB6_74:                               ;   in Loop: Header=BB6_17 Depth=1
	v_or_b32_e32 v46, s42, v49
	v_cmp_gt_i32_e32 vcc, s35, v46
	s_waitcnt vmcnt(0)
	v_mov_b32_e32 v24, 0
	v_mov_b64_e32 v[22:23], 0
	v_mov_b64_e32 v[38:39], 0
	v_mov_b32_e32 v40, 0
	s_and_saveexec_b64 s[0:1], vcc
	s_cbranch_execz .LBB6_76
; %bb.75:                               ;   in Loop: Header=BB6_17 Depth=1
	v_ashrrev_i32_e32 v47, 31, v46
	v_lshlrev_b64 v[26:27], 2, v[46:47]
	v_lshl_add_u64 v[28:29], s[26:27], 0, v[26:27]
	global_load_dword v25, v[28:29], off
	v_lshl_add_u64 v[26:27], s[28:29], 0, v[26:27]
	global_load_dword v40, v[26:27], off
	s_waitcnt vmcnt(1)
	v_mad_i64_i32 v[26:27], s[14:15], v25, s23, 0
	v_lshl_add_u64 v[38:39], v[26:27], 2, s[30:31]
.LBB6_76:                               ;   in Loop: Header=BB6_17 Depth=1
	s_or_b64 exec, exec, s[0:1]
	v_or_b32_e32 v25, 16, v46
	v_cmp_gt_i32_e32 vcc, s35, v25
	s_and_saveexec_b64 s[0:1], vcc
	s_cbranch_execz .LBB6_78
; %bb.77:                               ;   in Loop: Header=BB6_17 Depth=1
	v_ashrrev_i32_e32 v47, 31, v46
	v_lshlrev_b64 v[22:23], 2, v[46:47]
	v_lshl_add_u64 v[24:25], s[26:27], 0, v[22:23]
	global_load_dword v25, v[24:25], off offset:64
	v_lshl_add_u64 v[22:23], s[28:29], 0, v[22:23]
	global_load_dword v24, v[22:23], off offset:64
	s_waitcnt vmcnt(1)
	v_mad_i64_i32 v[22:23], s[14:15], v25, s23, 0
	v_lshl_add_u64 v[22:23], v[22:23], 2, s[30:31]
.LBB6_78:                               ;   in Loop: Header=BB6_17 Depth=1
	s_or_b64 exec, exec, s[0:1]
	v_or_b32_e32 v25, 32, v46
	v_cmp_gt_i32_e32 vcc, s35, v25
	v_mov_b32_e32 v28, 0
	v_mov_b64_e32 v[26:27], 0
	v_mov_b64_e32 v[42:43], 0
	v_mov_b32_e32 v44, 0
	s_and_saveexec_b64 s[0:1], vcc
	s_cbranch_execz .LBB6_80
; %bb.79:                               ;   in Loop: Header=BB6_17 Depth=1
	v_ashrrev_i32_e32 v47, 31, v46
	v_lshlrev_b64 v[42:43], 2, v[46:47]
	v_lshl_add_u64 v[44:45], s[26:27], 0, v[42:43]
	global_load_dword v25, v[44:45], off offset:128
	v_lshl_add_u64 v[42:43], s[28:29], 0, v[42:43]
	global_load_dword v44, v[42:43], off offset:128
	s_waitcnt vmcnt(1)
	v_mad_i64_i32 v[42:43], s[14:15], v25, s23, 0
	v_lshl_add_u64 v[42:43], v[42:43], 2, s[30:31]
.LBB6_80:                               ;   in Loop: Header=BB6_17 Depth=1
	s_or_b64 exec, exec, s[0:1]
	v_or_b32_e32 v25, 48, v46
	v_cmp_gt_i32_e32 vcc, s35, v25
	s_and_saveexec_b64 s[0:1], vcc
	s_cbranch_execz .LBB6_82
; %bb.81:                               ;   in Loop: Header=BB6_17 Depth=1
	v_ashrrev_i32_e32 v47, 31, v46
	v_lshlrev_b64 v[26:27], 2, v[46:47]
	v_lshl_add_u64 v[28:29], s[26:27], 0, v[26:27]
	global_load_dword v25, v[28:29], off offset:192
	v_lshl_add_u64 v[26:27], s[28:29], 0, v[26:27]
	global_load_dword v28, v[26:27], off offset:192
	s_waitcnt vmcnt(1)
	v_mad_i64_i32 v[26:27], s[14:15], v25, s23, 0
	v_lshl_add_u64 v[26:27], v[26:27], 2, s[30:31]
.LBB6_82:                               ;   in Loop: Header=BB6_17 Depth=1
	s_or_b64 exec, exec, s[0:1]
	v_cmp_ne_u64_e32 vcc, 0, v[38:39]
	s_and_saveexec_b64 s[0:1], s[6:7]
	s_xor_b64 s[40:41], exec, s[0:1]
	s_cbranch_execz .LBB6_102
; %bb.83:                               ;   in Loop: Header=BB6_17 Depth=1
	v_cmp_ne_u64_e64 s[18:19], 0, v[22:23]
	v_cmp_ne_u64_e64 s[14:15], 0, v[42:43]
	;; [unrolled: 1-line block ×3, first 2 shown]
	s_and_saveexec_b64 s[42:43], s[16:17]
	s_cbranch_execz .LBB6_89
; %bb.84:                               ;   in Loop: Header=BB6_17 Depth=1
	s_and_saveexec_b64 s[44:45], vcc
	s_cbranch_execnz .LBB6_111
; %bb.85:                               ;   in Loop: Header=BB6_17 Depth=1
	s_or_b64 exec, exec, s[44:45]
	s_and_saveexec_b64 s[44:45], s[18:19]
	s_cbranch_execnz .LBB6_112
.LBB6_86:                               ;   in Loop: Header=BB6_17 Depth=1
	s_or_b64 exec, exec, s[44:45]
	s_and_saveexec_b64 s[44:45], s[14:15]
	s_cbranch_execnz .LBB6_113
.LBB6_87:                               ;   in Loop: Header=BB6_17 Depth=1
	s_or_b64 exec, exec, s[44:45]
	s_and_b64 exec, exec, s[0:1]
	s_cbranch_execz .LBB6_89
.LBB6_88:                               ;   in Loop: Header=BB6_17 Depth=1
	s_waitcnt vmcnt(0)
	v_mul_f32_e32 v6, v28, v6
	v_lshl_add_u64 v[46:47], v[30:31], 2, v[26:27]
	global_atomic_add_f32 v[46:47], v6, off
.LBB6_89:                               ;   in Loop: Header=BB6_17 Depth=1
	s_or_b64 exec, exec, s[42:43]
	s_and_saveexec_b64 s[42:43], s[20:21]
	s_cbranch_execz .LBB6_95
; %bb.90:                               ;   in Loop: Header=BB6_17 Depth=1
	s_and_saveexec_b64 s[44:45], vcc
	s_cbranch_execnz .LBB6_114
; %bb.91:                               ;   in Loop: Header=BB6_17 Depth=1
	s_or_b64 exec, exec, s[44:45]
	s_and_saveexec_b64 s[44:45], s[18:19]
	s_cbranch_execnz .LBB6_115
.LBB6_92:                               ;   in Loop: Header=BB6_17 Depth=1
	s_or_b64 exec, exec, s[44:45]
	s_and_saveexec_b64 s[44:45], s[14:15]
	s_cbranch_execnz .LBB6_116
.LBB6_93:                               ;   in Loop: Header=BB6_17 Depth=1
	s_or_b64 exec, exec, s[44:45]
	s_and_b64 exec, exec, s[0:1]
	s_cbranch_execz .LBB6_95
.LBB6_94:                               ;   in Loop: Header=BB6_17 Depth=1
	s_waitcnt vmcnt(0)
	v_mul_f32_e32 v9, v28, v7
	v_lshl_add_u64 v[6:7], v[30:31], 2, v[26:27]
	global_atomic_add_f32 v[6:7], v9, off offset:4
.LBB6_95:                               ;   in Loop: Header=BB6_17 Depth=1
	s_or_b64 exec, exec, s[42:43]
	s_and_saveexec_b64 s[42:43], s[4:5]
	s_cbranch_execz .LBB6_101
; %bb.96:                               ;   in Loop: Header=BB6_17 Depth=1
	s_and_saveexec_b64 s[44:45], vcc
	s_cbranch_execnz .LBB6_117
; %bb.97:                               ;   in Loop: Header=BB6_17 Depth=1
	s_or_b64 exec, exec, s[44:45]
	s_and_saveexec_b64 s[44:45], s[18:19]
	s_cbranch_execnz .LBB6_118
.LBB6_98:                               ;   in Loop: Header=BB6_17 Depth=1
	s_or_b64 exec, exec, s[44:45]
	s_and_saveexec_b64 s[18:19], s[14:15]
	s_cbranch_execnz .LBB6_119
.LBB6_99:                               ;   in Loop: Header=BB6_17 Depth=1
	s_or_b64 exec, exec, s[18:19]
	s_and_b64 exec, exec, s[0:1]
	s_cbranch_execz .LBB6_101
.LBB6_100:                              ;   in Loop: Header=BB6_17 Depth=1
	s_waitcnt vmcnt(0)
	v_mul_f32_e32 v8, v28, v8
	v_lshl_add_u64 v[6:7], v[30:31], 2, v[26:27]
	global_atomic_add_f32 v[6:7], v8, off offset:8
.LBB6_101:                              ;   in Loop: Header=BB6_17 Depth=1
	s_or_b64 exec, exec, s[42:43]
                                        ; implicit-def: $vgpr18_vgpr19_vgpr20_vgpr21
                                        ; implicit-def: $vgpr14_vgpr15_vgpr16_vgpr17
                                        ; implicit-def: $vgpr10_vgpr11_vgpr12_vgpr13
                                        ; implicit-def: $vgpr6_vgpr7_vgpr8_vgpr9
                                        ; implicit-def: $vgpr38_vgpr39
                                        ; implicit-def: $vgpr40
                                        ; implicit-def: $vgpr22_vgpr23
                                        ; implicit-def: $vgpr24
                                        ; implicit-def: $vgpr42_vgpr43
                                        ; implicit-def: $vgpr44
                                        ; implicit-def: $vgpr26_vgpr27
                                        ; implicit-def: $vgpr28
.LBB6_102:                              ;   in Loop: Header=BB6_17 Depth=1
	s_andn2_saveexec_b64 s[0:1], s[40:41]
	s_cbranch_execz .LBB6_16
; %bb.103:                              ;   in Loop: Header=BB6_17 Depth=1
	s_and_saveexec_b64 s[14:15], vcc
	s_cbranch_execnz .LBB6_107
; %bb.104:                              ;   in Loop: Header=BB6_17 Depth=1
	s_or_b64 exec, exec, s[14:15]
	v_cmp_ne_u64_e32 vcc, 0, v[22:23]
	s_and_saveexec_b64 s[14:15], vcc
	s_cbranch_execnz .LBB6_108
.LBB6_105:                              ;   in Loop: Header=BB6_17 Depth=1
	s_or_b64 exec, exec, s[14:15]
	v_cmp_ne_u64_e32 vcc, 0, v[42:43]
	s_and_saveexec_b64 s[14:15], vcc
	s_cbranch_execnz .LBB6_109
.LBB6_106:                              ;   in Loop: Header=BB6_17 Depth=1
	s_or_b64 exec, exec, s[14:15]
	v_cmp_ne_u64_e32 vcc, 0, v[26:27]
	s_and_saveexec_b64 s[14:15], vcc
	s_cbranch_execz .LBB6_15
	s_branch .LBB6_110
.LBB6_107:                              ;   in Loop: Header=BB6_17 Depth=1
	s_waitcnt vmcnt(0)
	v_pk_mul_f32 v[18:19], v[18:19], v[40:41] op_sel_hi:[1,0]
	v_lshl_add_u64 v[38:39], v[30:31], 2, v[38:39]
	v_pk_mul_f32 v[20:21], v[20:21], v[40:41] op_sel_hi:[1,0]
	global_atomic_add_f32 v[38:39], v18, off
	global_atomic_add_f32 v[38:39], v19, off offset:4
	global_atomic_add_f32 v[38:39], v20, off offset:8
	;; [unrolled: 1-line block ×3, first 2 shown]
	s_or_b64 exec, exec, s[14:15]
	v_cmp_ne_u64_e32 vcc, 0, v[22:23]
	s_and_saveexec_b64 s[14:15], vcc
	s_cbranch_execz .LBB6_105
.LBB6_108:                              ;   in Loop: Header=BB6_17 Depth=1
	s_waitcnt vmcnt(0)
	v_pk_mul_f32 v[14:15], v[14:15], v[24:25] op_sel_hi:[1,0]
	v_lshl_add_u64 v[18:19], v[30:31], 2, v[22:23]
	v_pk_mul_f32 v[16:17], v[16:17], v[24:25] op_sel_hi:[1,0]
	global_atomic_add_f32 v[18:19], v14, off
	global_atomic_add_f32 v[18:19], v15, off offset:4
	global_atomic_add_f32 v[18:19], v16, off offset:8
	;; [unrolled: 1-line block ×3, first 2 shown]
	s_or_b64 exec, exec, s[14:15]
	v_cmp_ne_u64_e32 vcc, 0, v[42:43]
	s_and_saveexec_b64 s[14:15], vcc
	s_cbranch_execz .LBB6_106
.LBB6_109:                              ;   in Loop: Header=BB6_17 Depth=1
	s_waitcnt vmcnt(0)
	v_pk_mul_f32 v[10:11], v[10:11], v[44:45] op_sel_hi:[1,0]
	v_lshl_add_u64 v[14:15], v[30:31], 2, v[42:43]
	v_pk_mul_f32 v[12:13], v[12:13], v[44:45] op_sel_hi:[1,0]
	global_atomic_add_f32 v[14:15], v10, off
	global_atomic_add_f32 v[14:15], v11, off offset:4
	global_atomic_add_f32 v[14:15], v12, off offset:8
	;; [unrolled: 1-line block ×3, first 2 shown]
	s_or_b64 exec, exec, s[14:15]
	v_cmp_ne_u64_e32 vcc, 0, v[26:27]
	s_and_saveexec_b64 s[14:15], vcc
	s_cbranch_execz .LBB6_15
.LBB6_110:                              ;   in Loop: Header=BB6_17 Depth=1
	s_waitcnt vmcnt(0)
	v_pk_mul_f32 v[6:7], v[6:7], v[28:29] op_sel_hi:[1,0]
	v_lshl_add_u64 v[10:11], v[30:31], 2, v[26:27]
	v_pk_mul_f32 v[8:9], v[8:9], v[28:29] op_sel_hi:[1,0]
	global_atomic_add_f32 v[10:11], v6, off
	global_atomic_add_f32 v[10:11], v7, off offset:4
	global_atomic_add_f32 v[10:11], v8, off offset:8
	global_atomic_add_f32 v[10:11], v9, off offset:12
	s_branch .LBB6_15
.LBB6_111:                              ;   in Loop: Header=BB6_17 Depth=1
	s_waitcnt vmcnt(0)
	v_mul_f32_e32 v9, v40, v18
	v_lshl_add_u64 v[46:47], v[30:31], 2, v[38:39]
	global_atomic_add_f32 v[46:47], v9, off
	s_or_b64 exec, exec, s[44:45]
	s_and_saveexec_b64 s[44:45], s[18:19]
	s_cbranch_execz .LBB6_86
.LBB6_112:                              ;   in Loop: Header=BB6_17 Depth=1
	s_waitcnt vmcnt(0)
	v_mul_f32_e32 v9, v24, v14
	v_lshl_add_u64 v[46:47], v[30:31], 2, v[22:23]
	global_atomic_add_f32 v[46:47], v9, off
	s_or_b64 exec, exec, s[44:45]
	s_and_saveexec_b64 s[44:45], s[14:15]
	s_cbranch_execz .LBB6_87
.LBB6_113:                              ;   in Loop: Header=BB6_17 Depth=1
	s_waitcnt vmcnt(0)
	v_mul_f32_e32 v9, v44, v10
	v_lshl_add_u64 v[46:47], v[30:31], 2, v[42:43]
	global_atomic_add_f32 v[46:47], v9, off
	s_or_b64 exec, exec, s[44:45]
	s_and_b64 exec, exec, s[0:1]
	s_cbranch_execnz .LBB6_88
	s_branch .LBB6_89
.LBB6_114:                              ;   in Loop: Header=BB6_17 Depth=1
	s_waitcnt vmcnt(0)
	v_mul_f32_e32 v6, v40, v19
	v_lshl_add_u64 v[18:19], v[30:31], 2, v[38:39]
	global_atomic_add_f32 v[18:19], v6, off offset:4
	s_or_b64 exec, exec, s[44:45]
	s_and_saveexec_b64 s[44:45], s[18:19]
	s_cbranch_execz .LBB6_92
.LBB6_115:                              ;   in Loop: Header=BB6_17 Depth=1
	s_waitcnt vmcnt(0)
	v_mul_f32_e32 v6, v24, v15
	v_lshl_add_u64 v[14:15], v[30:31], 2, v[22:23]
	global_atomic_add_f32 v[14:15], v6, off offset:4
	s_or_b64 exec, exec, s[44:45]
	s_and_saveexec_b64 s[44:45], s[14:15]
	s_cbranch_execz .LBB6_93
.LBB6_116:                              ;   in Loop: Header=BB6_17 Depth=1
	s_waitcnt vmcnt(0)
	v_mul_f32_e32 v6, v44, v11
	v_lshl_add_u64 v[10:11], v[30:31], 2, v[42:43]
	global_atomic_add_f32 v[10:11], v6, off offset:4
	s_or_b64 exec, exec, s[44:45]
	s_and_b64 exec, exec, s[0:1]
	s_cbranch_execnz .LBB6_94
	s_branch .LBB6_95
.LBB6_117:                              ;   in Loop: Header=BB6_17 Depth=1
	s_waitcnt vmcnt(0)
	v_mul_f32_e32 v9, v40, v20
	v_lshl_add_u64 v[6:7], v[30:31], 2, v[38:39]
	global_atomic_add_f32 v[6:7], v9, off offset:8
	s_or_b64 exec, exec, s[44:45]
	s_and_saveexec_b64 s[44:45], s[18:19]
	s_cbranch_execz .LBB6_98
.LBB6_118:                              ;   in Loop: Header=BB6_17 Depth=1
	s_waitcnt vmcnt(0)
	v_mul_f32_e32 v9, v24, v16
	v_lshl_add_u64 v[6:7], v[30:31], 2, v[22:23]
	global_atomic_add_f32 v[6:7], v9, off offset:8
	s_or_b64 exec, exec, s[44:45]
	s_and_saveexec_b64 s[18:19], s[14:15]
	s_cbranch_execz .LBB6_99
.LBB6_119:                              ;   in Loop: Header=BB6_17 Depth=1
	s_waitcnt vmcnt(0)
	v_mul_f32_e32 v9, v44, v12
	v_lshl_add_u64 v[6:7], v[30:31], 2, v[42:43]
	global_atomic_add_f32 v[6:7], v9, off offset:8
	s_or_b64 exec, exec, s[18:19]
	s_and_b64 exec, exec, s[0:1]
	s_cbranch_execnz .LBB6_100
	s_branch .LBB6_101
.LBB6_120:
	s_endpgm
	.section	.rodata,"a",@progbits
	.p2align	6, 0x0
	.amdhsa_kernel _Z28moe_mlp2_scatter_mfma_kernelPKiiiPKfS0_S2_PfPK14__hip_bfloat16S6_iixx
		.amdhsa_group_segment_fixed_size 17408
		.amdhsa_private_segment_fixed_size 0
		.amdhsa_kernarg_size 344
		.amdhsa_user_sgpr_count 2
		.amdhsa_user_sgpr_dispatch_ptr 0
		.amdhsa_user_sgpr_queue_ptr 0
		.amdhsa_user_sgpr_kernarg_segment_ptr 1
		.amdhsa_user_sgpr_dispatch_id 0
		.amdhsa_user_sgpr_kernarg_preload_length 0
		.amdhsa_user_sgpr_kernarg_preload_offset 0
		.amdhsa_user_sgpr_private_segment_size 0
		.amdhsa_uses_dynamic_stack 0
		.amdhsa_enable_private_segment 0
		.amdhsa_system_sgpr_workgroup_id_x 1
		.amdhsa_system_sgpr_workgroup_id_y 1
		.amdhsa_system_sgpr_workgroup_id_z 1
		.amdhsa_system_sgpr_workgroup_info 0
		.amdhsa_system_vgpr_workitem_id 0
		.amdhsa_next_free_vgpr 64
		.amdhsa_next_free_sgpr 52
		.amdhsa_accum_offset 64
		.amdhsa_reserve_vcc 1
		.amdhsa_float_round_mode_32 0
		.amdhsa_float_round_mode_16_64 0
		.amdhsa_float_denorm_mode_32 3
		.amdhsa_float_denorm_mode_16_64 3
		.amdhsa_dx10_clamp 1
		.amdhsa_ieee_mode 1
		.amdhsa_fp16_overflow 0
		.amdhsa_tg_split 0
		.amdhsa_exception_fp_ieee_invalid_op 0
		.amdhsa_exception_fp_denorm_src 0
		.amdhsa_exception_fp_ieee_div_zero 0
		.amdhsa_exception_fp_ieee_overflow 0
		.amdhsa_exception_fp_ieee_underflow 0
		.amdhsa_exception_fp_ieee_inexact 0
		.amdhsa_exception_int_div_zero 0
	.end_amdhsa_kernel
	.text
.Lfunc_end6:
	.size	_Z28moe_mlp2_scatter_mfma_kernelPKiiiPKfS0_S2_PfPK14__hip_bfloat16S6_iixx, .Lfunc_end6-_Z28moe_mlp2_scatter_mfma_kernelPKiiiPKfS0_S2_PfPK14__hip_bfloat16S6_iixx
                                        ; -- End function
	.set _Z28moe_mlp2_scatter_mfma_kernelPKiiiPKfS0_S2_PfPK14__hip_bfloat16S6_iixx.num_vgpr, 64
	.set _Z28moe_mlp2_scatter_mfma_kernelPKiiiPKfS0_S2_PfPK14__hip_bfloat16S6_iixx.num_agpr, 0
	.set _Z28moe_mlp2_scatter_mfma_kernelPKiiiPKfS0_S2_PfPK14__hip_bfloat16S6_iixx.numbered_sgpr, 52
	.set _Z28moe_mlp2_scatter_mfma_kernelPKiiiPKfS0_S2_PfPK14__hip_bfloat16S6_iixx.num_named_barrier, 0
	.set _Z28moe_mlp2_scatter_mfma_kernelPKiiiPKfS0_S2_PfPK14__hip_bfloat16S6_iixx.private_seg_size, 0
	.set _Z28moe_mlp2_scatter_mfma_kernelPKiiiPKfS0_S2_PfPK14__hip_bfloat16S6_iixx.uses_vcc, 1
	.set _Z28moe_mlp2_scatter_mfma_kernelPKiiiPKfS0_S2_PfPK14__hip_bfloat16S6_iixx.uses_flat_scratch, 0
	.set _Z28moe_mlp2_scatter_mfma_kernelPKiiiPKfS0_S2_PfPK14__hip_bfloat16S6_iixx.has_dyn_sized_stack, 0
	.set _Z28moe_mlp2_scatter_mfma_kernelPKiiiPKfS0_S2_PfPK14__hip_bfloat16S6_iixx.has_recursion, 0
	.set _Z28moe_mlp2_scatter_mfma_kernelPKiiiPKfS0_S2_PfPK14__hip_bfloat16S6_iixx.has_indirect_call, 0
	.section	.AMDGPU.csdata,"",@progbits
; Kernel info:
; codeLenInByte = 3824
; TotalNumSgprs: 58
; NumVgprs: 64
; NumAgprs: 0
; TotalNumVgprs: 64
; ScratchSize: 0
; MemoryBound: 0
; FloatMode: 240
; IeeeMode: 1
; LDSByteSize: 17408 bytes/workgroup (compile time only)
; SGPRBlocks: 7
; VGPRBlocks: 7
; NumSGPRsForWavesPerEU: 58
; NumVGPRsForWavesPerEU: 64
; AccumOffset: 64
; Occupancy: 8
; WaveLimiterHint : 1
; COMPUTE_PGM_RSRC2:SCRATCH_EN: 0
; COMPUTE_PGM_RSRC2:USER_SGPR: 2
; COMPUTE_PGM_RSRC2:TRAP_HANDLER: 0
; COMPUTE_PGM_RSRC2:TGID_X_EN: 1
; COMPUTE_PGM_RSRC2:TGID_Y_EN: 1
; COMPUTE_PGM_RSRC2:TGID_Z_EN: 1
; COMPUTE_PGM_RSRC2:TIDIG_COMP_CNT: 0
; COMPUTE_PGM_RSRC3_GFX90A:ACCUM_OFFSET: 15
; COMPUTE_PGM_RSRC3_GFX90A:TG_SPLIT: 0
	.text
	.protected	_Z26moe_mlp2_store_mfma_kernelPKiiiPKfS2_PfPK14__hip_bfloat16S6_iixx ; -- Begin function _Z26moe_mlp2_store_mfma_kernelPKiiiPKfS2_PfPK14__hip_bfloat16S6_iixx
	.globl	_Z26moe_mlp2_store_mfma_kernelPKiiiPKfS2_PfPK14__hip_bfloat16S6_iixx
	.p2align	8
	.type	_Z26moe_mlp2_store_mfma_kernelPKiiiPKfS2_PfPK14__hip_bfloat16S6_iixx,@function
_Z26moe_mlp2_store_mfma_kernelPKiiiPKfS2_PfPK14__hip_bfloat16S6_iixx: ; @_Z26moe_mlp2_store_mfma_kernelPKiiiPKfS2_PfPK14__hip_bfloat16S6_iixx
; %bb.0:
	s_load_dwordx2 s[6:7], s[0:1], 0x8
	s_waitcnt lgkmcnt(0)
	s_cmp_ge_i32 s4, s7
	s_cbranch_scc1 .LBB7_120
; %bb.1:
	s_load_dwordx2 s[8:9], s[0:1], 0x0
	s_load_dwordx2 s[22:23], s[0:1], 0x38
	s_add_i32 s4, s6, s4
	s_mul_i32 s4, s4, 3
	s_ashr_i32 s5, s4, 31
	s_lshl_b64 s[4:5], s[4:5], 2
	s_waitcnt lgkmcnt(0)
	s_add_u32 s6, s8, s4
	s_addc_u32 s7, s9, s5
	s_load_dwordx2 s[34:35], s[6:7], 0x4
	s_cmp_eq_u32 s23, 0
	s_cselect_b64 s[4:5], -1, 0
	s_waitcnt lgkmcnt(0)
	s_cmp_eq_u32 s35, 0
	s_cselect_b64 s[8:9], -1, 0
	s_or_b64 s[4:5], s[4:5], s[8:9]
	s_cmp_eq_u32 s22, 0
	s_cselect_b64 s[8:9], -1, 0
	s_or_b64 s[4:5], s[8:9], s[4:5]
	s_and_b64 vcc, exec, s[4:5]
	s_cbranch_vccnz .LBB7_120
; %bb.2:
	s_load_dword s18, s[6:7], 0x0
	s_load_dwordx2 s[4:5], s[0:1], 0x30
	s_load_dwordx4 s[12:15], s[0:1], 0x40
	s_mov_b64 s[8:9], 0
	s_waitcnt lgkmcnt(0)
	s_ashr_i32 s19, s18, 31
	s_cmp_eq_u64 s[4:5], 0
	s_cbranch_scc1 .LBB7_4
; %bb.3:
	s_mul_i32 s6, s14, s19
	s_mul_hi_u32 s7, s14, s18
	s_add_i32 s6, s7, s6
	s_mul_i32 s7, s15, s18
	s_add_i32 s7, s6, s7
	s_mul_i32 s6, s14, s18
	s_lshl_b64 s[6:7], s[6:7], 1
	s_add_u32 s8, s4, s6
	s_addc_u32 s9, s5, s7
.LBB7_4:
	s_lshl_b32 s14, s3, 8
	s_cmp_lt_i32 s14, s23
	s_cselect_b64 s[4:5], -1, 0
	s_lshl_b32 s15, s2, 6
	s_cmp_lt_i32 s15, s35
	s_cselect_b64 s[6:7], -1, 0
	s_and_b64 s[4:5], s[4:5], s[6:7]
	s_andn2_b64 vcc, exec, s[4:5]
	s_cbranch_vccnz .LBB7_120
; %bb.5:
	v_lshrrev_b32_e32 v2, 2, v0
	v_and_b32_e32 v1, 0xf0, v2
	v_or_b32_e32 v6, s14, v1
	v_and_b32_e32 v48, 12, v2
	v_or_b32_e32 v26, v6, v48
	s_cmp_lg_u64 s[8:9], 0
	s_cselect_b64 s[10:11], -1, 0
	v_cmp_gt_i32_e64 s[16:17], s23, v26
	v_mov_b32_e32 v2, 0
	s_and_b64 s[6:7], s[10:11], s[16:17]
	v_mov_b32_e32 v3, v2
	v_mov_b32_e32 v4, v2
	;; [unrolled: 1-line block ×3, first 2 shown]
	s_and_saveexec_b64 s[4:5], s[6:7]
	s_cbranch_execz .LBB7_7
; %bb.6:
	v_ashrrev_i32_e32 v27, 31, v26
	v_lshl_add_u64 v[4:5], v[26:27], 1, s[8:9]
	global_load_ushort v3, v[4:5], off
	v_mov_b32_e32 v9, v2
	v_mov_b32_e32 v10, v2
	;; [unrolled: 1-line block ×3, first 2 shown]
	s_waitcnt vmcnt(0)
	v_lshlrev_b32_e32 v8, 16, v3
	v_mov_b64_e32 v[2:3], v[8:9]
	v_mov_b64_e32 v[4:5], v[10:11]
.LBB7_7:
	s_or_b64 exec, exec, s[4:5]
	v_or_b32_e32 v7, 1, v26
	v_cmp_gt_i32_e64 s[20:21], s23, v7
	s_and_b64 s[6:7], s[10:11], s[20:21]
	s_and_saveexec_b64 s[4:5], s[6:7]
	s_cbranch_execz .LBB7_9
; %bb.8:
	v_ashrrev_i32_e32 v27, 31, v26
	v_lshl_add_u64 v[8:9], v[26:27], 1, s[8:9]
	global_load_ushort v3, v[8:9], off offset:2
	s_waitcnt vmcnt(0)
	v_lshlrev_b32_e32 v3, 16, v3
.LBB7_9:
	s_or_b64 exec, exec, s[4:5]
	v_or_b32_e32 v7, 2, v26
	v_cmp_gt_i32_e64 s[4:5], s23, v7
	s_and_b64 s[24:25], s[10:11], s[4:5]
	s_and_saveexec_b64 s[6:7], s[24:25]
	s_cbranch_execz .LBB7_11
; %bb.10:
	v_ashrrev_i32_e32 v27, 31, v26
	v_lshl_add_u64 v[8:9], v[26:27], 1, s[8:9]
	global_load_ushort v4, v[8:9], off offset:4
	s_waitcnt vmcnt(0)
	v_lshlrev_b32_e32 v4, 16, v4
.LBB7_11:
	s_or_b64 exec, exec, s[6:7]
	v_or_b32_e32 v7, 3, v26
	v_cmp_gt_i32_e32 vcc, s23, v7
	v_cmp_le_i32_e64 s[6:7], s23, v7
	s_and_b64 s[24:25], s[10:11], vcc
	s_and_saveexec_b64 s[10:11], s[24:25]
	s_cbranch_execz .LBB7_13
; %bb.12:
	v_ashrrev_i32_e32 v27, 31, v26
	v_lshl_add_u64 v[8:9], v[26:27], 1, s[8:9]
	global_load_ushort v5, v[8:9], off offset:6
	s_waitcnt vmcnt(0)
	v_lshlrev_b32_e32 v5, 16, v5
.LBB7_13:
	s_or_b64 exec, exec, s[10:11]
	s_add_i32 s3, s35, 63
	s_ashr_i32 s8, s3, 31
	s_lshr_b32 s8, s8, 26
	s_add_i32 s3, s3, s8
	s_ashr_i32 s3, s3, 6
	s_cmp_lt_u32 s35, 0xffffff82
	s_cselect_b64 s[8:9], -1, 0
	s_cmp_lt_i32 s2, s3
	s_cselect_b64 s[10:11], -1, 0
	s_and_b64 s[8:9], s[8:9], s[10:11]
	s_and_b64 vcc, exec, s[8:9]
	s_cbranch_vccz .LBB7_120
; %bb.14:
	s_load_dwordx8 s[24:31], s[0:1], 0x10
	s_add_i32 s8, s22, 63
	s_ashr_i32 s9, s8, 31
	s_lshr_b32 s9, s9, 26
	s_add_i32 s8, s8, s9
	s_mul_hi_i32 s11, s34, s22
	s_mul_i32 s10, s34, s22
	s_ashr_i32 s33, s8, 6
	s_ashr_i32 s9, s34, 31
	;; [unrolled: 1-line block ×3, first 2 shown]
	s_lshl_b64 s[10:11], s[10:11], 2
	s_mov_b32 s8, s34
	s_waitcnt lgkmcnt(0)
	s_add_u32 s10, s24, s10
	s_addc_u32 s11, s25, s11
	s_lshl_b64 s[36:37], s[8:9], 2
	s_add_u32 s26, s26, s36
	s_mul_hi_i32 s9, s34, s23
	s_mul_i32 s8, s34, s23
	s_addc_u32 s27, s27, s37
	s_lshl_b64 s[8:9], s[8:9], 2
	s_add_u32 s28, s28, s8
	v_lshlrev_b32_e32 v7, 2, v0
	v_and_b32_e32 v49, 15, v0
	s_addc_u32 s29, s29, s9
	v_and_b32_e32 v10, 60, v7
	v_lshlrev_b32_e32 v8, 2, v10
	v_mov_b32_e32 v9, 0
	s_cmp_gt_i32 s22, 0
	v_or_b32_e32 v6, v6, v49
	s_mov_b32 s46, s23
	v_lshrrev_b32_e32 v50, 4, v0
	v_lshl_add_u64 v[28:29], s[10:11], 0, v[8:9]
	v_lshlrev_b32_e32 v7, 1, v10
	s_movk_i32 s34, 0x88
	s_cselect_b64 s[38:39], -1, 0
	v_cmp_gt_i32_e64 s[10:11], s23, v6
	s_load_dword s23, s[0:1], 0x50
	s_max_i32 s0, s33, 1
	v_lshlrev_b32_e32 v6, 1, v48
	v_mad_u32_u24 v51, v50, s34, v7
	v_mad_u32_u24 v52, v49, s34, v6
	s_lshl_b32 s34, s0, 6
	v_lshlrev_b32_e32 v8, 4, v49
	s_mul_i32 s0, s12, s19
	s_mul_hi_u32 s1, s12, s18
	v_lshl_add_u64 v[6:7], s[24:25], 0, v[8:9]
	s_mov_b64 s[24:25], 0x100
	s_add_i32 s0, s1, s0
	s_mul_i32 s1, s13, s18
	v_add3_u32 v1, s14, v1, v49
	v_lshl_add_u64 v[30:31], v[6:7], 0, s[24:25]
	s_add_i32 s1, s0, s1
	s_mul_i32 s0, s12, s18
	v_mad_i64_i32 v[6:7], s[12:13], s22, v1, 0
	v_lshlrev_b64 v[6:7], 1, v[6:7]
	v_lshrrev_b32_e32 v0, 1, v0
	v_lshl_add_u64 v[6:7], s[0:1], 1, v[6:7]
	v_and_b32_e32 v8, 24, v0
	v_lshl_add_u64 v[0:1], v[6:7], 0, v[8:9]
	v_lshl_add_u64 v[0:1], s[30:31], 0, v[0:1]
	s_mov_b64 s[0:1], 0x64
	v_cndmask_b32_e64 v6, 0, 1, s[38:39]
	s_mov_b32 s45, s22
	v_cmp_gt_i32_e64 s[8:9], s22, v10
	v_ashrrev_i32_e32 v27, 31, v26
	v_add_u32_e32 v32, s15, v50
	s_waitcnt lgkmcnt(0)
	s_lshl_b32 s47, s23, 6
	v_lshl_add_u64 v[0:1], v[0:1], 0, s[0:1]
	v_or_b32_e32 v53, 64, v10
	s_mov_b32 s48, 0x5040100
	v_cmp_ne_u32_e64 s[12:13], 1, v6
	s_mov_b32 s49, 0xffff
	s_mov_b64 s[30:31], 0x80
	s_branch .LBB7_17
.LBB7_15:                               ;   in Loop: Header=BB7_17 Depth=1
	s_or_b64 exec, exec, s[14:15]
.LBB7_16:                               ;   in Loop: Header=BB7_17 Depth=1
	s_or_b64 exec, exec, s[0:1]
	s_add_i32 s2, s23, s2
	s_cmp_lt_i32 s2, s3
	v_add_u32_e32 v32, s47, v32
	s_barrier
	s_cbranch_scc0 .LBB7_120
.LBB7_17:                               ; =>This Loop Header: Depth=1
                                        ;     Child Loop BB7_23 Depth 2
	s_lshl_b32 s40, s2, 6
	v_or_b32_e32 v8, s40, v50
	v_cmp_gt_i32_e64 s[14:15], s35, v8
	s_and_b64 s[18:19], s[14:15], s[8:9]
	v_mov_b32_e32 v6, 0
	v_mov_b32_e32 v7, 0
	s_and_saveexec_b64 s[0:1], s[18:19]
	s_cbranch_execz .LBB7_19
; %bb.18:                               ;   in Loop: Header=BB7_17 Depth=1
	v_mad_i64_i32 v[6:7], s[18:19], v8, s45, 0
	v_lshl_add_u64 v[6:7], v[6:7], 2, v[28:29]
	global_load_dwordx4 v[6:9], v[6:7], off
	s_waitcnt vmcnt(0)
	v_cvt_pk_bf16_f32 v6, v6, s0
	v_cvt_pk_bf16_f32 v7, v7, v8
	;; [unrolled: 1-line block ×3, first 2 shown]
	v_perm_b32 v6, v7, v6, s48
	v_alignbit_b32 v7, v8, v7, 16
.LBB7_19:                               ;   in Loop: Header=BB7_17 Depth=1
	s_or_b64 exec, exec, s[0:1]
	ds_write_b64 v51, v[6:7]
	v_mov_b64_e32 v[20:21], v[4:5]
	v_mov_b64_e32 v[16:17], v[4:5]
	;; [unrolled: 1-line block ×4, first 2 shown]
	s_and_b64 vcc, exec, s[12:13]
	v_mov_b64_e32 v[18:19], v[2:3]
	v_mov_b64_e32 v[14:15], v[2:3]
	;; [unrolled: 1-line block ×4, first 2 shown]
	s_waitcnt lgkmcnt(0)
	s_barrier
	s_cbranch_vccnz .LBB7_74
; %bb.20:                               ;   in Loop: Header=BB7_17 Depth=1
	v_ashrrev_i32_e32 v33, 31, v32
	v_lshl_add_u64 v[6:7], v[32:33], 2, s[36:37]
	v_mul_lo_u32 v7, s45, v7
	v_mul_lo_u32 v8, s44, v6
	v_mad_u64_u32 v[34:35], s[0:1], s45, v6, v[30:31]
	v_add3_u32 v35, v8, v35, v7
	v_mov_b64_e32 v[20:21], v[4:5]
	v_mov_b64_e32 v[16:17], v[4:5]
	v_mov_b64_e32 v[12:13], v[4:5]
	v_mov_b64_e32 v[8:9], v[4:5]
	s_mov_b32 s41, 0
	s_mov_b32 s42, 1
	v_mov_b64_e32 v[36:37], v[0:1]
	v_mov_b64_e32 v[18:19], v[2:3]
	;; [unrolled: 1-line block ×5, first 2 shown]
	s_branch .LBB7_23
.LBB7_21:                               ;   in Loop: Header=BB7_23 Depth=2
	s_or_b64 exec, exec, s[18:19]
.LBB7_22:                               ;   in Loop: Header=BB7_23 Depth=2
	s_or_b64 exec, exec, s[0:1]
	ds_read_b64 v[18:19], v44 offset:96
	ds_read_b64 v[40:41], v44 offset:2272
	;; [unrolled: 1-line block ×4, first 2 shown]
	s_add_i32 s41, s41, 64
	s_waitcnt vmcnt(0) lgkmcnt(3)
	v_mfma_f32_16x16x16_bf16 v[18:21], v[38:39], v[18:19], v[22:25]
	s_add_i32 s42, s42, 1
	v_lshl_add_u64 v[34:35], v[34:35], 0, s[24:25]
	s_cmp_eq_u32 s34, s41
	s_waitcnt lgkmcnt(2)
	v_mfma_f32_16x16x16_bf16 v[14:17], v[38:39], v[40:41], v[14:17]
	v_lshl_add_u64 v[36:37], v[36:37], 0, s[30:31]
	s_waitcnt lgkmcnt(0)
	s_barrier
	v_mfma_f32_16x16x16_bf16 v[10:13], v[38:39], v[42:43], v[10:13]
	v_mfma_f32_16x16x16_bf16 v[6:9], v[38:39], v[44:45], v[6:9]
	s_cbranch_scc1 .LBB7_74
.LBB7_23:                               ;   Parent Loop BB7_17 Depth=1
                                        ; =>  This Inner Loop Header: Depth=2
	s_add_i32 s0, s42, -1
	s_and_b32 s43, s0, 1
	s_cmp_ge_i32 s42, s33
	s_cbranch_scc1 .LBB7_27
; %bb.24:                               ;   in Loop: Header=BB7_23 Depth=2
	s_waitcnt vmcnt(0)
	v_add_u32_e32 v22, s41, v53
	v_cmp_gt_i32_e32 vcc, s22, v22
	s_and_b64 s[18:19], s[14:15], vcc
	v_mov_b32_e32 v22, 0
	v_mov_b32_e32 v23, 0
	s_and_saveexec_b64 s[0:1], s[18:19]
	s_cbranch_execz .LBB7_26
; %bb.25:                               ;   in Loop: Header=BB7_23 Depth=2
	global_load_dwordx4 v[22:25], v[34:35], off
	s_waitcnt vmcnt(0)
	v_cvt_pk_bf16_f32 v22, v22, s0
	v_cvt_pk_bf16_f32 v23, v23, v24
	;; [unrolled: 1-line block ×3, first 2 shown]
	v_perm_b32 v22, v23, v22, s48
	v_alignbit_b32 v23, v24, v23, 16
.LBB7_26:                               ;   in Loop: Header=BB7_23 Depth=2
	s_or_b64 exec, exec, s[0:1]
	s_xor_b32 s0, s43, 1
	s_mulk_i32 s0, 0x2200
	v_add_u32_e32 v24, s0, v51
	ds_write_b64 v24, v[22:23]
.LBB7_27:                               ;   in Loop: Header=BB7_23 Depth=2
	v_add_u32_e32 v33, s41, v48
	s_waitcnt vmcnt(0)
	v_mov_b32_e32 v40, 0
	v_mov_b32_e32 v38, 0
	;; [unrolled: 1-line block ×3, first 2 shown]
	s_and_saveexec_b64 s[0:1], s[10:11]
	s_cbranch_execz .LBB7_39
; %bb.28:                               ;   in Loop: Header=BB7_23 Depth=2
	v_add_u32_e32 v22, 3, v33
	v_cmp_le_i32_e32 vcc, s22, v22
                                        ; implicit-def: $vgpr39
	s_and_saveexec_b64 s[18:19], vcc
	s_xor_b64 s[18:19], exec, s[18:19]
	s_cbranch_execz .LBB7_36
; %bb.29:                               ;   in Loop: Header=BB7_23 Depth=2
	v_cmp_gt_i32_e32 vcc, s22, v33
	v_mov_b32_e32 v39, 0
	v_mov_b32_e32 v38, 0
	s_and_saveexec_b64 s[38:39], vcc
	s_cbranch_execz .LBB7_31
; %bb.30:                               ;   in Loop: Header=BB7_23 Depth=2
	global_load_ushort v22, v[36:37], off offset:-100
	s_waitcnt vmcnt(0)
	v_and_b32_e32 v38, 0xffff, v22
.LBB7_31:                               ;   in Loop: Header=BB7_23 Depth=2
	s_or_b64 exec, exec, s[38:39]
	v_add_u32_e32 v22, 1, v33
	v_cmp_gt_i32_e32 vcc, s22, v22
	s_and_saveexec_b64 s[38:39], vcc
	s_cbranch_execz .LBB7_33
; %bb.32:                               ;   in Loop: Header=BB7_23 Depth=2
	global_load_ushort v22, v[36:37], off offset:-98
	s_waitcnt vmcnt(0)
	v_perm_b32 v38, v22, v38, s48
.LBB7_33:                               ;   in Loop: Header=BB7_23 Depth=2
	s_or_b64 exec, exec, s[38:39]
	v_add_u32_e32 v22, 2, v33
	v_cmp_gt_i32_e32 vcc, s22, v22
	s_and_saveexec_b64 s[38:39], vcc
	s_cbranch_execz .LBB7_35
; %bb.34:                               ;   in Loop: Header=BB7_23 Depth=2
	global_load_ushort v22, v[36:37], off offset:-96
	s_waitcnt vmcnt(0)
	v_bfi_b32 v39, s49, v22, v39
.LBB7_35:                               ;   in Loop: Header=BB7_23 Depth=2
	s_or_b64 exec, exec, s[38:39]
.LBB7_36:                               ;   in Loop: Header=BB7_23 Depth=2
	s_andn2_saveexec_b64 s[18:19], s[18:19]
	s_cbranch_execz .LBB7_38
; %bb.37:                               ;   in Loop: Header=BB7_23 Depth=2
	global_load_dwordx2 v[38:39], v[36:37], off offset:-100
.LBB7_38:                               ;   in Loop: Header=BB7_23 Depth=2
	s_or_b64 exec, exec, s[18:19]
.LBB7_39:                               ;   in Loop: Header=BB7_23 Depth=2
	s_or_b64 exec, exec, s[0:1]
	s_mulk_i32 s43, 0x2200
	v_add_u32_e32 v44, s43, v52
	ds_read_b64 v[22:23], v44
	ds_read_b64 v[24:25], v44 offset:2176
	ds_read_b64 v[42:43], v44 offset:4352
	;; [unrolled: 1-line block ×3, first 2 shown]
	v_mov_b32_e32 v41, 0
	s_waitcnt vmcnt(0) lgkmcnt(3)
	v_mfma_f32_16x16x16_bf16 v[18:21], v[38:39], v[22:23], v[18:21]
	s_waitcnt lgkmcnt(2)
	v_mfma_f32_16x16x16_bf16 v[14:17], v[38:39], v[24:25], v[14:17]
	s_waitcnt lgkmcnt(1)
	;; [unrolled: 2-line block ×3, first 2 shown]
	v_mfma_f32_16x16x16_bf16 v[6:9], v[38:39], v[46:47], v[6:9]
	s_and_saveexec_b64 s[0:1], s[10:11]
	s_cbranch_execz .LBB7_51
; %bb.40:                               ;   in Loop: Header=BB7_23 Depth=2
	v_add_u32_e32 v10, 19, v33
	v_cmp_le_i32_e32 vcc, s22, v10
                                        ; implicit-def: $vgpr41
	s_and_saveexec_b64 s[18:19], vcc
	s_xor_b64 s[18:19], exec, s[18:19]
	s_cbranch_execz .LBB7_48
; %bb.41:                               ;   in Loop: Header=BB7_23 Depth=2
	v_add_u32_e32 v10, 16, v33
	v_cmp_gt_i32_e32 vcc, s22, v10
	v_mov_b32_e32 v41, 0
	v_mov_b32_e32 v40, 0
	s_and_saveexec_b64 s[38:39], vcc
	s_cbranch_execz .LBB7_43
; %bb.42:                               ;   in Loop: Header=BB7_23 Depth=2
	global_load_ushort v10, v[36:37], off offset:-68
	s_waitcnt vmcnt(0)
	v_and_b32_e32 v40, 0xffff, v10
.LBB7_43:                               ;   in Loop: Header=BB7_23 Depth=2
	s_or_b64 exec, exec, s[38:39]
	v_add_u32_e32 v10, 17, v33
	v_cmp_gt_i32_e32 vcc, s22, v10
	s_and_saveexec_b64 s[38:39], vcc
	s_cbranch_execz .LBB7_45
; %bb.44:                               ;   in Loop: Header=BB7_23 Depth=2
	global_load_ushort v10, v[36:37], off offset:-66
	s_waitcnt vmcnt(0)
	v_perm_b32 v40, v10, v40, s48
.LBB7_45:                               ;   in Loop: Header=BB7_23 Depth=2
	s_or_b64 exec, exec, s[38:39]
	v_add_u32_e32 v10, 18, v33
	v_cmp_gt_i32_e32 vcc, s22, v10
	s_and_saveexec_b64 s[38:39], vcc
	s_cbranch_execz .LBB7_47
; %bb.46:                               ;   in Loop: Header=BB7_23 Depth=2
	global_load_ushort v10, v[36:37], off offset:-64
	s_waitcnt vmcnt(0)
	v_bfi_b32 v41, s49, v10, v41
.LBB7_47:                               ;   in Loop: Header=BB7_23 Depth=2
	s_or_b64 exec, exec, s[38:39]
.LBB7_48:                               ;   in Loop: Header=BB7_23 Depth=2
	s_andn2_saveexec_b64 s[18:19], s[18:19]
	s_cbranch_execz .LBB7_50
; %bb.49:                               ;   in Loop: Header=BB7_23 Depth=2
	global_load_dwordx2 v[40:41], v[36:37], off offset:-68
.LBB7_50:                               ;   in Loop: Header=BB7_23 Depth=2
	s_or_b64 exec, exec, s[18:19]
.LBB7_51:                               ;   in Loop: Header=BB7_23 Depth=2
	s_or_b64 exec, exec, s[0:1]
	ds_read_b64 v[10:11], v44 offset:32
	ds_read_b64 v[38:39], v44 offset:2208
	;; [unrolled: 1-line block ×4, first 2 shown]
	s_waitcnt vmcnt(0) lgkmcnt(3)
	v_mfma_f32_16x16x16_bf16 v[10:13], v[40:41], v[10:11], v[18:21]
	s_waitcnt lgkmcnt(2)
	v_mfma_f32_16x16x16_bf16 v[14:17], v[40:41], v[38:39], v[14:17]
	v_mov_b32_e32 v38, 0
	s_waitcnt lgkmcnt(1)
	v_mfma_f32_16x16x16_bf16 v[18:21], v[40:41], v[42:43], v[22:25]
	v_mov_b32_e32 v42, 0
	v_mov_b32_e32 v43, 0
	s_waitcnt lgkmcnt(0)
	v_mfma_f32_16x16x16_bf16 v[6:9], v[40:41], v[46:47], v[6:9]
	s_and_saveexec_b64 s[0:1], s[10:11]
	s_cbranch_execz .LBB7_63
; %bb.52:                               ;   in Loop: Header=BB7_23 Depth=2
	v_add_u32_e32 v22, 35, v33
	v_cmp_le_i32_e32 vcc, s22, v22
                                        ; implicit-def: $vgpr43
	s_and_saveexec_b64 s[18:19], vcc
	s_xor_b64 s[18:19], exec, s[18:19]
	s_cbranch_execz .LBB7_60
; %bb.53:                               ;   in Loop: Header=BB7_23 Depth=2
	v_add_u32_e32 v22, 32, v33
	v_cmp_gt_i32_e32 vcc, s22, v22
	v_mov_b32_e32 v43, 0
	v_mov_b32_e32 v42, 0
	s_and_saveexec_b64 s[38:39], vcc
	s_cbranch_execz .LBB7_55
; %bb.54:                               ;   in Loop: Header=BB7_23 Depth=2
	global_load_ushort v22, v[36:37], off offset:-36
	s_waitcnt vmcnt(0)
	v_and_b32_e32 v42, 0xffff, v22
.LBB7_55:                               ;   in Loop: Header=BB7_23 Depth=2
	s_or_b64 exec, exec, s[38:39]
	v_add_u32_e32 v22, 33, v33
	v_cmp_gt_i32_e32 vcc, s22, v22
	s_and_saveexec_b64 s[38:39], vcc
	s_cbranch_execz .LBB7_57
; %bb.56:                               ;   in Loop: Header=BB7_23 Depth=2
	global_load_ushort v22, v[36:37], off offset:-34
	s_waitcnt vmcnt(0)
	v_perm_b32 v42, v22, v42, s48
.LBB7_57:                               ;   in Loop: Header=BB7_23 Depth=2
	s_or_b64 exec, exec, s[38:39]
	v_add_u32_e32 v22, 34, v33
	v_cmp_gt_i32_e32 vcc, s22, v22
	s_and_saveexec_b64 s[38:39], vcc
	s_cbranch_execz .LBB7_59
; %bb.58:                               ;   in Loop: Header=BB7_23 Depth=2
	global_load_ushort v22, v[36:37], off offset:-32
	s_waitcnt vmcnt(0)
	v_bfi_b32 v43, s49, v22, v43
.LBB7_59:                               ;   in Loop: Header=BB7_23 Depth=2
	s_or_b64 exec, exec, s[38:39]
.LBB7_60:                               ;   in Loop: Header=BB7_23 Depth=2
	s_andn2_saveexec_b64 s[18:19], s[18:19]
	s_cbranch_execz .LBB7_62
; %bb.61:                               ;   in Loop: Header=BB7_23 Depth=2
	global_load_dwordx2 v[42:43], v[36:37], off offset:-36
.LBB7_62:                               ;   in Loop: Header=BB7_23 Depth=2
	s_or_b64 exec, exec, s[18:19]
.LBB7_63:                               ;   in Loop: Header=BB7_23 Depth=2
	s_or_b64 exec, exec, s[0:1]
	ds_read_b64 v[22:23], v44 offset:64
	ds_read_b64 v[40:41], v44 offset:2240
	;; [unrolled: 1-line block ×4, first 2 shown]
	v_mov_b32_e32 v39, 0
	s_waitcnt vmcnt(0) lgkmcnt(3)
	v_mfma_f32_16x16x16_bf16 v[22:25], v[42:43], v[22:23], v[10:13]
	s_waitcnt lgkmcnt(2)
	v_mfma_f32_16x16x16_bf16 v[14:17], v[42:43], v[40:41], v[14:17]
	s_waitcnt lgkmcnt(1)
	;; [unrolled: 2-line block ×3, first 2 shown]
	v_mfma_f32_16x16x16_bf16 v[6:9], v[42:43], v[54:55], v[6:9]
	s_and_saveexec_b64 s[0:1], s[10:11]
	s_cbranch_execz .LBB7_22
; %bb.64:                               ;   in Loop: Header=BB7_23 Depth=2
	v_add_u32_e32 v18, 51, v33
	v_cmp_le_i32_e32 vcc, s22, v18
                                        ; implicit-def: $vgpr39
	s_and_saveexec_b64 s[18:19], vcc
	s_xor_b64 s[18:19], exec, s[18:19]
	s_cbranch_execz .LBB7_72
; %bb.65:                               ;   in Loop: Header=BB7_23 Depth=2
	v_add_u32_e32 v18, 48, v33
	v_cmp_gt_i32_e32 vcc, s22, v18
	v_mov_b32_e32 v39, 0
	v_mov_b32_e32 v38, 0
	s_and_saveexec_b64 s[38:39], vcc
	s_cbranch_execz .LBB7_67
; %bb.66:                               ;   in Loop: Header=BB7_23 Depth=2
	global_load_ushort v18, v[36:37], off offset:-4
	s_waitcnt vmcnt(0)
	v_and_b32_e32 v38, 0xffff, v18
.LBB7_67:                               ;   in Loop: Header=BB7_23 Depth=2
	s_or_b64 exec, exec, s[38:39]
	v_add_u32_e32 v18, 49, v33
	v_cmp_gt_i32_e32 vcc, s22, v18
	s_and_saveexec_b64 s[38:39], vcc
	s_cbranch_execz .LBB7_69
; %bb.68:                               ;   in Loop: Header=BB7_23 Depth=2
	global_load_ushort v18, v[36:37], off offset:-2
	s_waitcnt vmcnt(0)
	v_perm_b32 v38, v18, v38, s48
.LBB7_69:                               ;   in Loop: Header=BB7_23 Depth=2
	s_or_b64 exec, exec, s[38:39]
	v_add_u32_e32 v18, 50, v33
	v_cmp_gt_i32_e32 vcc, s22, v18
	s_and_saveexec_b64 s[38:39], vcc
	s_cbranch_execz .LBB7_71
; %bb.70:                               ;   in Loop: Header=BB7_23 Depth=2
	global_load_ushort v18, v[36:37], off
	s_waitcnt vmcnt(0)
	v_bfi_b32 v39, s49, v18, v39
.LBB7_71:                               ;   in Loop: Header=BB7_23 Depth=2
	s_or_b64 exec, exec, s[38:39]
.LBB7_72:                               ;   in Loop: Header=BB7_23 Depth=2
	s_andn2_saveexec_b64 s[18:19], s[18:19]
	s_cbranch_execz .LBB7_21
; %bb.73:                               ;   in Loop: Header=BB7_23 Depth=2
	global_load_dwordx2 v[38:39], v[36:37], off offset:-4
	s_branch .LBB7_21
.LBB7_74:                               ;   in Loop: Header=BB7_17 Depth=1
	v_or_b32_e32 v46, s40, v49
	v_cmp_gt_i32_e32 vcc, s35, v46
	s_waitcnt vmcnt(0)
	v_mov_b32_e32 v24, 0
	v_mov_b64_e32 v[36:37], 0
	v_mov_b64_e32 v[44:45], 0
	v_mov_b32_e32 v40, 0
	s_and_saveexec_b64 s[0:1], vcc
	s_cbranch_execz .LBB7_76
; %bb.75:                               ;   in Loop: Header=BB7_17 Depth=1
	v_ashrrev_i32_e32 v47, 31, v46
	v_lshl_add_u64 v[22:23], v[46:47], 2, s[26:27]
	global_load_dword v40, v[22:23], off
	v_mad_i64_i32 v[22:23], s[14:15], v46, s46, 0
	v_lshl_add_u64 v[44:45], v[22:23], 2, s[28:29]
.LBB7_76:                               ;   in Loop: Header=BB7_17 Depth=1
	s_or_b64 exec, exec, s[0:1]
	v_or_b32_e32 v22, 16, v46
	v_cmp_gt_i32_e32 vcc, s35, v22
	s_and_saveexec_b64 s[0:1], vcc
	s_cbranch_execz .LBB7_78
; %bb.77:                               ;   in Loop: Header=BB7_17 Depth=1
	v_ashrrev_i32_e32 v47, 31, v46
	v_lshl_add_u64 v[24:25], v[46:47], 2, s[26:27]
	global_load_dword v24, v[24:25], off offset:64
	v_mad_i64_i32 v[22:23], s[14:15], v22, s46, 0
	v_lshl_add_u64 v[36:37], v[22:23], 2, s[28:29]
.LBB7_78:                               ;   in Loop: Header=BB7_17 Depth=1
	s_or_b64 exec, exec, s[0:1]
	v_or_b32_e32 v23, 32, v46
	v_cmp_gt_i32_e32 vcc, s35, v23
	v_mov_b32_e32 v22, 0
	v_mov_b64_e32 v[34:35], 0
	v_mov_b64_e32 v[42:43], 0
	v_mov_b32_e32 v38, 0
	s_and_saveexec_b64 s[0:1], vcc
	s_cbranch_execz .LBB7_80
; %bb.79:                               ;   in Loop: Header=BB7_17 Depth=1
	v_ashrrev_i32_e32 v47, 31, v46
	v_lshl_add_u64 v[38:39], v[46:47], 2, s[26:27]
	global_load_dword v38, v[38:39], off offset:128
	v_mad_i64_i32 v[42:43], s[14:15], v23, s46, 0
	v_lshl_add_u64 v[42:43], v[42:43], 2, s[28:29]
.LBB7_80:                               ;   in Loop: Header=BB7_17 Depth=1
	s_or_b64 exec, exec, s[0:1]
	v_or_b32_e32 v23, 48, v46
	v_cmp_gt_i32_e32 vcc, s35, v23
	s_and_saveexec_b64 s[0:1], vcc
	s_cbranch_execz .LBB7_82
; %bb.81:                               ;   in Loop: Header=BB7_17 Depth=1
	v_ashrrev_i32_e32 v47, 31, v46
	v_lshl_add_u64 v[34:35], v[46:47], 2, s[26:27]
	global_load_dword v22, v[34:35], off offset:192
	v_mad_i64_i32 v[34:35], s[14:15], v23, s46, 0
	v_lshl_add_u64 v[34:35], v[34:35], 2, s[28:29]
.LBB7_82:                               ;   in Loop: Header=BB7_17 Depth=1
	s_or_b64 exec, exec, s[0:1]
	v_cmp_ne_u64_e32 vcc, 0, v[44:45]
	s_and_saveexec_b64 s[0:1], s[6:7]
	s_xor_b64 s[38:39], exec, s[0:1]
	s_cbranch_execz .LBB7_102
; %bb.83:                               ;   in Loop: Header=BB7_17 Depth=1
	v_cmp_ne_u64_e64 s[18:19], 0, v[36:37]
	v_cmp_ne_u64_e64 s[14:15], 0, v[42:43]
	;; [unrolled: 1-line block ×3, first 2 shown]
	s_and_saveexec_b64 s[40:41], s[16:17]
	s_cbranch_execz .LBB7_89
; %bb.84:                               ;   in Loop: Header=BB7_17 Depth=1
	s_and_saveexec_b64 s[42:43], vcc
	s_cbranch_execnz .LBB7_111
; %bb.85:                               ;   in Loop: Header=BB7_17 Depth=1
	s_or_b64 exec, exec, s[42:43]
	s_and_saveexec_b64 s[42:43], s[18:19]
	s_cbranch_execnz .LBB7_112
.LBB7_86:                               ;   in Loop: Header=BB7_17 Depth=1
	s_or_b64 exec, exec, s[42:43]
	s_and_saveexec_b64 s[42:43], s[14:15]
	s_cbranch_execnz .LBB7_113
.LBB7_87:                               ;   in Loop: Header=BB7_17 Depth=1
	s_or_b64 exec, exec, s[42:43]
	s_and_b64 exec, exec, s[0:1]
	s_cbranch_execz .LBB7_89
.LBB7_88:                               ;   in Loop: Header=BB7_17 Depth=1
	v_lshl_add_u64 v[46:47], v[26:27], 2, v[34:35]
	s_waitcnt vmcnt(0)
	v_mul_f32_e32 v6, v22, v6
	global_store_dword v[46:47], v6, off
.LBB7_89:                               ;   in Loop: Header=BB7_17 Depth=1
	s_or_b64 exec, exec, s[40:41]
	s_and_saveexec_b64 s[40:41], s[20:21]
	s_cbranch_execz .LBB7_95
; %bb.90:                               ;   in Loop: Header=BB7_17 Depth=1
	s_and_saveexec_b64 s[42:43], vcc
	s_cbranch_execnz .LBB7_114
; %bb.91:                               ;   in Loop: Header=BB7_17 Depth=1
	s_or_b64 exec, exec, s[42:43]
	s_and_saveexec_b64 s[42:43], s[18:19]
	s_cbranch_execnz .LBB7_115
.LBB7_92:                               ;   in Loop: Header=BB7_17 Depth=1
	s_or_b64 exec, exec, s[42:43]
	s_and_saveexec_b64 s[42:43], s[14:15]
	s_cbranch_execnz .LBB7_116
.LBB7_93:                               ;   in Loop: Header=BB7_17 Depth=1
	s_or_b64 exec, exec, s[42:43]
	s_and_b64 exec, exec, s[0:1]
	s_cbranch_execz .LBB7_95
.LBB7_94:                               ;   in Loop: Header=BB7_17 Depth=1
	v_lshl_add_u64 v[10:11], v[26:27], 2, v[34:35]
	s_waitcnt vmcnt(0)
	v_mul_f32_e32 v6, v22, v7
	global_store_dword v[10:11], v6, off offset:4
.LBB7_95:                               ;   in Loop: Header=BB7_17 Depth=1
	s_or_b64 exec, exec, s[40:41]
	s_and_saveexec_b64 s[40:41], s[4:5]
	s_cbranch_execz .LBB7_101
; %bb.96:                               ;   in Loop: Header=BB7_17 Depth=1
	s_and_saveexec_b64 s[42:43], vcc
	s_cbranch_execnz .LBB7_117
; %bb.97:                               ;   in Loop: Header=BB7_17 Depth=1
	s_or_b64 exec, exec, s[42:43]
	s_and_saveexec_b64 s[42:43], s[18:19]
	s_cbranch_execnz .LBB7_118
.LBB7_98:                               ;   in Loop: Header=BB7_17 Depth=1
	s_or_b64 exec, exec, s[42:43]
	s_and_saveexec_b64 s[18:19], s[14:15]
	s_cbranch_execnz .LBB7_119
.LBB7_99:                               ;   in Loop: Header=BB7_17 Depth=1
	s_or_b64 exec, exec, s[18:19]
	s_and_b64 exec, exec, s[0:1]
	s_cbranch_execz .LBB7_101
.LBB7_100:                              ;   in Loop: Header=BB7_17 Depth=1
	v_lshl_add_u64 v[6:7], v[26:27], 2, v[34:35]
	s_waitcnt vmcnt(0)
	v_mul_f32_e32 v8, v22, v8
	global_store_dword v[6:7], v8, off offset:8
.LBB7_101:                              ;   in Loop: Header=BB7_17 Depth=1
	s_or_b64 exec, exec, s[40:41]
                                        ; implicit-def: $vgpr18_vgpr19_vgpr20_vgpr21
                                        ; implicit-def: $vgpr14_vgpr15_vgpr16_vgpr17
                                        ; implicit-def: $vgpr10_vgpr11_vgpr12_vgpr13
                                        ; implicit-def: $vgpr6_vgpr7_vgpr8_vgpr9
                                        ; implicit-def: $vgpr44_vgpr45
                                        ; implicit-def: $vgpr40
                                        ; implicit-def: $vgpr36_vgpr37
                                        ; implicit-def: $vgpr24
                                        ; implicit-def: $vgpr42_vgpr43
                                        ; implicit-def: $vgpr38
                                        ; implicit-def: $vgpr34_vgpr35
                                        ; implicit-def: $vgpr22
.LBB7_102:                              ;   in Loop: Header=BB7_17 Depth=1
	s_andn2_saveexec_b64 s[0:1], s[38:39]
	s_cbranch_execz .LBB7_16
; %bb.103:                              ;   in Loop: Header=BB7_17 Depth=1
	s_and_saveexec_b64 s[14:15], vcc
	s_cbranch_execnz .LBB7_107
; %bb.104:                              ;   in Loop: Header=BB7_17 Depth=1
	s_or_b64 exec, exec, s[14:15]
	v_cmp_ne_u64_e32 vcc, 0, v[36:37]
	s_and_saveexec_b64 s[14:15], vcc
	s_cbranch_execnz .LBB7_108
.LBB7_105:                              ;   in Loop: Header=BB7_17 Depth=1
	s_or_b64 exec, exec, s[14:15]
	v_cmp_ne_u64_e32 vcc, 0, v[42:43]
	s_and_saveexec_b64 s[14:15], vcc
	s_cbranch_execnz .LBB7_109
.LBB7_106:                              ;   in Loop: Header=BB7_17 Depth=1
	s_or_b64 exec, exec, s[14:15]
	v_cmp_ne_u64_e32 vcc, 0, v[34:35]
	s_and_saveexec_b64 s[14:15], vcc
	s_cbranch_execz .LBB7_15
	s_branch .LBB7_110
.LBB7_107:                              ;   in Loop: Header=BB7_17 Depth=1
	v_lshl_add_u64 v[44:45], v[26:27], 2, v[44:45]
	s_waitcnt vmcnt(0)
	v_pk_mul_f32 v[20:21], v[20:21], v[40:41] op_sel_hi:[1,0]
	v_pk_mul_f32 v[18:19], v[18:19], v[40:41] op_sel_hi:[1,0]
	global_store_dwordx4 v[44:45], v[18:21], off
	s_or_b64 exec, exec, s[14:15]
	v_cmp_ne_u64_e32 vcc, 0, v[36:37]
	s_and_saveexec_b64 s[14:15], vcc
	s_cbranch_execz .LBB7_105
.LBB7_108:                              ;   in Loop: Header=BB7_17 Depth=1
	v_lshl_add_u64 v[18:19], v[26:27], 2, v[36:37]
	s_waitcnt vmcnt(0)
	v_pk_mul_f32 v[16:17], v[16:17], v[24:25] op_sel_hi:[1,0]
	v_pk_mul_f32 v[14:15], v[14:15], v[24:25] op_sel_hi:[1,0]
	global_store_dwordx4 v[18:19], v[14:17], off
	s_or_b64 exec, exec, s[14:15]
	v_cmp_ne_u64_e32 vcc, 0, v[42:43]
	s_and_saveexec_b64 s[14:15], vcc
	s_cbranch_execz .LBB7_106
.LBB7_109:                              ;   in Loop: Header=BB7_17 Depth=1
	v_lshl_add_u64 v[14:15], v[26:27], 2, v[42:43]
	s_waitcnt vmcnt(0)
	v_pk_mul_f32 v[12:13], v[12:13], v[38:39] op_sel_hi:[1,0]
	v_pk_mul_f32 v[10:11], v[10:11], v[38:39] op_sel_hi:[1,0]
	global_store_dwordx4 v[14:15], v[10:13], off
	s_or_b64 exec, exec, s[14:15]
	v_cmp_ne_u64_e32 vcc, 0, v[34:35]
	s_and_saveexec_b64 s[14:15], vcc
	s_cbranch_execz .LBB7_15
.LBB7_110:                              ;   in Loop: Header=BB7_17 Depth=1
	v_lshl_add_u64 v[10:11], v[26:27], 2, v[34:35]
	s_waitcnt vmcnt(0)
	v_pk_mul_f32 v[8:9], v[8:9], v[22:23] op_sel_hi:[1,0]
	v_pk_mul_f32 v[6:7], v[6:7], v[22:23] op_sel_hi:[1,0]
	global_store_dwordx4 v[10:11], v[6:9], off
	s_branch .LBB7_15
.LBB7_111:                              ;   in Loop: Header=BB7_17 Depth=1
	v_lshl_add_u64 v[46:47], v[26:27], 2, v[44:45]
	s_waitcnt vmcnt(0)
	v_mul_f32_e32 v9, v40, v18
	global_store_dword v[46:47], v9, off
	s_or_b64 exec, exec, s[42:43]
	s_and_saveexec_b64 s[42:43], s[18:19]
	s_cbranch_execz .LBB7_86
.LBB7_112:                              ;   in Loop: Header=BB7_17 Depth=1
	v_lshl_add_u64 v[46:47], v[26:27], 2, v[36:37]
	s_waitcnt vmcnt(0)
	v_mul_f32_e32 v9, v24, v14
	global_store_dword v[46:47], v9, off
	s_or_b64 exec, exec, s[42:43]
	s_and_saveexec_b64 s[42:43], s[14:15]
	s_cbranch_execz .LBB7_87
.LBB7_113:                              ;   in Loop: Header=BB7_17 Depth=1
	v_lshl_add_u64 v[46:47], v[26:27], 2, v[42:43]
	s_waitcnt vmcnt(0)
	v_mul_f32_e32 v9, v38, v10
	global_store_dword v[46:47], v9, off
	s_or_b64 exec, exec, s[42:43]
	s_and_b64 exec, exec, s[0:1]
	s_cbranch_execnz .LBB7_88
	s_branch .LBB7_89
.LBB7_114:                              ;   in Loop: Header=BB7_17 Depth=1
	v_lshl_add_u64 v[46:47], v[26:27], 2, v[44:45]
	s_waitcnt vmcnt(0)
	v_mul_f32_e32 v6, v40, v19
	global_store_dword v[46:47], v6, off offset:4
	s_or_b64 exec, exec, s[42:43]
	s_and_saveexec_b64 s[42:43], s[18:19]
	s_cbranch_execz .LBB7_92
.LBB7_115:                              ;   in Loop: Header=BB7_17 Depth=1
	v_lshl_add_u64 v[18:19], v[26:27], 2, v[36:37]
	s_waitcnt vmcnt(0)
	v_mul_f32_e32 v6, v24, v15
	global_store_dword v[18:19], v6, off offset:4
	s_or_b64 exec, exec, s[42:43]
	s_and_saveexec_b64 s[42:43], s[14:15]
	s_cbranch_execz .LBB7_93
.LBB7_116:                              ;   in Loop: Header=BB7_17 Depth=1
	v_lshl_add_u64 v[14:15], v[26:27], 2, v[42:43]
	s_waitcnt vmcnt(0)
	v_mul_f32_e32 v6, v38, v11
	global_store_dword v[14:15], v6, off offset:4
	s_or_b64 exec, exec, s[42:43]
	s_and_b64 exec, exec, s[0:1]
	s_cbranch_execnz .LBB7_94
	s_branch .LBB7_95
.LBB7_117:                              ;   in Loop: Header=BB7_17 Depth=1
	v_lshl_add_u64 v[6:7], v[26:27], 2, v[44:45]
	s_waitcnt vmcnt(0)
	v_mul_f32_e32 v9, v40, v20
	global_store_dword v[6:7], v9, off offset:8
	s_or_b64 exec, exec, s[42:43]
	s_and_saveexec_b64 s[42:43], s[18:19]
	s_cbranch_execz .LBB7_98
.LBB7_118:                              ;   in Loop: Header=BB7_17 Depth=1
	v_lshl_add_u64 v[6:7], v[26:27], 2, v[36:37]
	s_waitcnt vmcnt(0)
	v_mul_f32_e32 v9, v24, v16
	global_store_dword v[6:7], v9, off offset:8
	s_or_b64 exec, exec, s[42:43]
	s_and_saveexec_b64 s[18:19], s[14:15]
	s_cbranch_execz .LBB7_99
.LBB7_119:                              ;   in Loop: Header=BB7_17 Depth=1
	v_lshl_add_u64 v[6:7], v[26:27], 2, v[42:43]
	s_waitcnt vmcnt(0)
	v_mul_f32_e32 v9, v38, v12
	global_store_dword v[6:7], v9, off offset:8
	s_or_b64 exec, exec, s[18:19]
	s_and_b64 exec, exec, s[0:1]
	s_cbranch_execnz .LBB7_100
	s_branch .LBB7_101
.LBB7_120:
	s_endpgm
	.section	.rodata,"a",@progbits
	.p2align	6, 0x0
	.amdhsa_kernel _Z26moe_mlp2_store_mfma_kernelPKiiiPKfS2_PfPK14__hip_bfloat16S6_iixx
		.amdhsa_group_segment_fixed_size 17408
		.amdhsa_private_segment_fixed_size 0
		.amdhsa_kernarg_size 336
		.amdhsa_user_sgpr_count 2
		.amdhsa_user_sgpr_dispatch_ptr 0
		.amdhsa_user_sgpr_queue_ptr 0
		.amdhsa_user_sgpr_kernarg_segment_ptr 1
		.amdhsa_user_sgpr_dispatch_id 0
		.amdhsa_user_sgpr_kernarg_preload_length 0
		.amdhsa_user_sgpr_kernarg_preload_offset 0
		.amdhsa_user_sgpr_private_segment_size 0
		.amdhsa_uses_dynamic_stack 0
		.amdhsa_enable_private_segment 0
		.amdhsa_system_sgpr_workgroup_id_x 1
		.amdhsa_system_sgpr_workgroup_id_y 1
		.amdhsa_system_sgpr_workgroup_id_z 1
		.amdhsa_system_sgpr_workgroup_info 0
		.amdhsa_system_vgpr_workitem_id 0
		.amdhsa_next_free_vgpr 56
		.amdhsa_next_free_sgpr 50
		.amdhsa_accum_offset 56
		.amdhsa_reserve_vcc 1
		.amdhsa_float_round_mode_32 0
		.amdhsa_float_round_mode_16_64 0
		.amdhsa_float_denorm_mode_32 3
		.amdhsa_float_denorm_mode_16_64 3
		.amdhsa_dx10_clamp 1
		.amdhsa_ieee_mode 1
		.amdhsa_fp16_overflow 0
		.amdhsa_tg_split 0
		.amdhsa_exception_fp_ieee_invalid_op 0
		.amdhsa_exception_fp_denorm_src 0
		.amdhsa_exception_fp_ieee_div_zero 0
		.amdhsa_exception_fp_ieee_overflow 0
		.amdhsa_exception_fp_ieee_underflow 0
		.amdhsa_exception_fp_ieee_inexact 0
		.amdhsa_exception_int_div_zero 0
	.end_amdhsa_kernel
	.text
.Lfunc_end7:
	.size	_Z26moe_mlp2_store_mfma_kernelPKiiiPKfS2_PfPK14__hip_bfloat16S6_iixx, .Lfunc_end7-_Z26moe_mlp2_store_mfma_kernelPKiiiPKfS2_PfPK14__hip_bfloat16S6_iixx
                                        ; -- End function
	.set _Z26moe_mlp2_store_mfma_kernelPKiiiPKfS2_PfPK14__hip_bfloat16S6_iixx.num_vgpr, 56
	.set _Z26moe_mlp2_store_mfma_kernelPKiiiPKfS2_PfPK14__hip_bfloat16S6_iixx.num_agpr, 0
	.set _Z26moe_mlp2_store_mfma_kernelPKiiiPKfS2_PfPK14__hip_bfloat16S6_iixx.numbered_sgpr, 50
	.set _Z26moe_mlp2_store_mfma_kernelPKiiiPKfS2_PfPK14__hip_bfloat16S6_iixx.num_named_barrier, 0
	.set _Z26moe_mlp2_store_mfma_kernelPKiiiPKfS2_PfPK14__hip_bfloat16S6_iixx.private_seg_size, 0
	.set _Z26moe_mlp2_store_mfma_kernelPKiiiPKfS2_PfPK14__hip_bfloat16S6_iixx.uses_vcc, 1
	.set _Z26moe_mlp2_store_mfma_kernelPKiiiPKfS2_PfPK14__hip_bfloat16S6_iixx.uses_flat_scratch, 0
	.set _Z26moe_mlp2_store_mfma_kernelPKiiiPKfS2_PfPK14__hip_bfloat16S6_iixx.has_dyn_sized_stack, 0
	.set _Z26moe_mlp2_store_mfma_kernelPKiiiPKfS2_PfPK14__hip_bfloat16S6_iixx.has_recursion, 0
	.set _Z26moe_mlp2_store_mfma_kernelPKiiiPKfS2_PfPK14__hip_bfloat16S6_iixx.has_indirect_call, 0
	.section	.AMDGPU.csdata,"",@progbits
; Kernel info:
; codeLenInByte = 3644
; TotalNumSgprs: 56
; NumVgprs: 56
; NumAgprs: 0
; TotalNumVgprs: 56
; ScratchSize: 0
; MemoryBound: 0
; FloatMode: 240
; IeeeMode: 1
; LDSByteSize: 17408 bytes/workgroup (compile time only)
; SGPRBlocks: 6
; VGPRBlocks: 6
; NumSGPRsForWavesPerEU: 56
; NumVGPRsForWavesPerEU: 56
; AccumOffset: 56
; Occupancy: 8
; WaveLimiterHint : 1
; COMPUTE_PGM_RSRC2:SCRATCH_EN: 0
; COMPUTE_PGM_RSRC2:USER_SGPR: 2
; COMPUTE_PGM_RSRC2:TRAP_HANDLER: 0
; COMPUTE_PGM_RSRC2:TGID_X_EN: 1
; COMPUTE_PGM_RSRC2:TGID_Y_EN: 1
; COMPUTE_PGM_RSRC2:TGID_Z_EN: 1
; COMPUTE_PGM_RSRC2:TIDIG_COMP_CNT: 0
; COMPUTE_PGM_RSRC3_GFX90A:ACCUM_OFFSET: 13
; COMPUTE_PGM_RSRC3_GFX90A:TG_SPLIT: 0
	.text
	.protected	_Z36accumulate_remote_assignments_kernelPKfPKiiiiPf ; -- Begin function _Z36accumulate_remote_assignments_kernelPKfPKiiiiPf
	.globl	_Z36accumulate_remote_assignments_kernelPKfPKiiiiPf
	.p2align	8
	.type	_Z36accumulate_remote_assignments_kernelPKfPKiiiiPf,@function
_Z36accumulate_remote_assignments_kernelPKfPKiiiiPf: ; @_Z36accumulate_remote_assignments_kernelPKfPKiiiiPf
; %bb.0:
	s_load_dword s8, s[0:1], 0x34
	s_load_dwordx4 s[4:7], s[0:1], 0x10
	s_waitcnt lgkmcnt(0)
	s_and_b32 s7, s8, 0xffff
	s_mul_i32 s2, s2, s7
	v_add_u32_e32 v0, s2, v0
	s_cmp_lt_i32 s3, s5
	v_cmp_gt_i32_e32 vcc, s6, v0
	s_cselect_b64 s[8:9], -1, 0
	s_and_b64 s[8:9], s[8:9], vcc
	s_and_saveexec_b64 s[10:11], s[8:9]
	s_cbranch_execz .LBB8_2
; %bb.1:
	s_load_dwordx4 s[8:11], s[0:1], 0x0
	s_load_dwordx2 s[12:13], s[0:1], 0x20
	s_add_i32 s0, s4, s3
	s_ashr_i32 s1, s0, 31
	s_lshl_b64 s[0:1], s[0:1], 2
	s_waitcnt lgkmcnt(0)
	s_add_u32 s0, s10, s0
	s_addc_u32 s1, s11, s1
	s_load_dword s0, s[0:1], 0x0
	s_mul_hi_i32 s1, s6, s3
	v_ashrrev_i32_e32 v1, 31, v0
	v_lshlrev_b64 v[0:1], 2, v[0:1]
	s_waitcnt lgkmcnt(0)
	s_mul_hi_i32 s5, s0, s6
	s_mul_i32 s4, s0, s6
	s_lshl_b64 s[4:5], s[4:5], 2
	s_add_u32 s4, s12, s4
	s_mul_i32 s0, s6, s3
	s_addc_u32 s5, s13, s5
	s_lshl_b64 s[0:1], s[0:1], 2
	s_add_u32 s0, s8, s0
	s_addc_u32 s1, s9, s1
	v_lshl_add_u64 v[2:3], s[0:1], 0, v[0:1]
	global_load_dword v2, v[2:3], off
	v_lshl_add_u64 v[0:1], s[4:5], 0, v[0:1]
	s_waitcnt vmcnt(0)
	global_atomic_add_f32 v[0:1], v2, off
.LBB8_2:
	s_endpgm
	.section	.rodata,"a",@progbits
	.p2align	6, 0x0
	.amdhsa_kernel _Z36accumulate_remote_assignments_kernelPKfPKiiiiPf
		.amdhsa_group_segment_fixed_size 0
		.amdhsa_private_segment_fixed_size 0
		.amdhsa_kernarg_size 296
		.amdhsa_user_sgpr_count 2
		.amdhsa_user_sgpr_dispatch_ptr 0
		.amdhsa_user_sgpr_queue_ptr 0
		.amdhsa_user_sgpr_kernarg_segment_ptr 1
		.amdhsa_user_sgpr_dispatch_id 0
		.amdhsa_user_sgpr_kernarg_preload_length 0
		.amdhsa_user_sgpr_kernarg_preload_offset 0
		.amdhsa_user_sgpr_private_segment_size 0
		.amdhsa_uses_dynamic_stack 0
		.amdhsa_enable_private_segment 0
		.amdhsa_system_sgpr_workgroup_id_x 1
		.amdhsa_system_sgpr_workgroup_id_y 1
		.amdhsa_system_sgpr_workgroup_id_z 0
		.amdhsa_system_sgpr_workgroup_info 0
		.amdhsa_system_vgpr_workitem_id 0
		.amdhsa_next_free_vgpr 4
		.amdhsa_next_free_sgpr 14
		.amdhsa_accum_offset 4
		.amdhsa_reserve_vcc 1
		.amdhsa_float_round_mode_32 0
		.amdhsa_float_round_mode_16_64 0
		.amdhsa_float_denorm_mode_32 3
		.amdhsa_float_denorm_mode_16_64 3
		.amdhsa_dx10_clamp 1
		.amdhsa_ieee_mode 1
		.amdhsa_fp16_overflow 0
		.amdhsa_tg_split 0
		.amdhsa_exception_fp_ieee_invalid_op 0
		.amdhsa_exception_fp_denorm_src 0
		.amdhsa_exception_fp_ieee_div_zero 0
		.amdhsa_exception_fp_ieee_overflow 0
		.amdhsa_exception_fp_ieee_underflow 0
		.amdhsa_exception_fp_ieee_inexact 0
		.amdhsa_exception_int_div_zero 0
	.end_amdhsa_kernel
	.text
.Lfunc_end8:
	.size	_Z36accumulate_remote_assignments_kernelPKfPKiiiiPf, .Lfunc_end8-_Z36accumulate_remote_assignments_kernelPKfPKiiiiPf
                                        ; -- End function
	.set _Z36accumulate_remote_assignments_kernelPKfPKiiiiPf.num_vgpr, 4
	.set _Z36accumulate_remote_assignments_kernelPKfPKiiiiPf.num_agpr, 0
	.set _Z36accumulate_remote_assignments_kernelPKfPKiiiiPf.numbered_sgpr, 14
	.set _Z36accumulate_remote_assignments_kernelPKfPKiiiiPf.num_named_barrier, 0
	.set _Z36accumulate_remote_assignments_kernelPKfPKiiiiPf.private_seg_size, 0
	.set _Z36accumulate_remote_assignments_kernelPKfPKiiiiPf.uses_vcc, 1
	.set _Z36accumulate_remote_assignments_kernelPKfPKiiiiPf.uses_flat_scratch, 0
	.set _Z36accumulate_remote_assignments_kernelPKfPKiiiiPf.has_dyn_sized_stack, 0
	.set _Z36accumulate_remote_assignments_kernelPKfPKiiiiPf.has_recursion, 0
	.set _Z36accumulate_remote_assignments_kernelPKfPKiiiiPf.has_indirect_call, 0
	.section	.AMDGPU.csdata,"",@progbits
; Kernel info:
; codeLenInByte = 204
; TotalNumSgprs: 20
; NumVgprs: 4
; NumAgprs: 0
; TotalNumVgprs: 4
; ScratchSize: 0
; MemoryBound: 0
; FloatMode: 240
; IeeeMode: 1
; LDSByteSize: 0 bytes/workgroup (compile time only)
; SGPRBlocks: 2
; VGPRBlocks: 0
; NumSGPRsForWavesPerEU: 20
; NumVGPRsForWavesPerEU: 4
; AccumOffset: 4
; Occupancy: 8
; WaveLimiterHint : 1
; COMPUTE_PGM_RSRC2:SCRATCH_EN: 0
; COMPUTE_PGM_RSRC2:USER_SGPR: 2
; COMPUTE_PGM_RSRC2:TRAP_HANDLER: 0
; COMPUTE_PGM_RSRC2:TGID_X_EN: 1
; COMPUTE_PGM_RSRC2:TGID_Y_EN: 1
; COMPUTE_PGM_RSRC2:TGID_Z_EN: 0
; COMPUTE_PGM_RSRC2:TIDIG_COMP_CNT: 0
; COMPUTE_PGM_RSRC3_GFX90A:ACCUM_OFFSET: 0
; COMPUTE_PGM_RSRC3_GFX90A:TG_SPLIT: 0
	.text
	.protected	_Z14rmsnorm_kernelPfS_P14__hip_bfloat16ii ; -- Begin function _Z14rmsnorm_kernelPfS_P14__hip_bfloat16ii
	.globl	_Z14rmsnorm_kernelPfS_P14__hip_bfloat16ii
	.p2align	8
	.type	_Z14rmsnorm_kernelPfS_P14__hip_bfloat16ii,@function
_Z14rmsnorm_kernelPfS_P14__hip_bfloat16ii: ; @_Z14rmsnorm_kernelPfS_P14__hip_bfloat16ii
; %bb.0:
	s_load_dwordx2 s[8:9], s[0:1], 0x18
	s_waitcnt lgkmcnt(0)
	s_cmp_ge_i32 s2, s8
	s_cbranch_scc1 .LBB9_14
; %bb.1:
	s_load_dwordx4 s[4:7], s[0:1], 0x0
	s_load_dwordx2 s[10:11], s[0:1], 0x10
	s_mul_i32 s2, s9, s2
	s_ashr_i32 s3, s2, 31
	s_lshl_b64 s[12:13], s[2:3], 2
	s_waitcnt lgkmcnt(0)
	s_add_u32 s6, s6, s12
	s_addc_u32 s7, s7, s13
	v_cmp_gt_i32_e64 s[2:3], s9, v0
	v_mov_b32_e32 v4, 0
	s_and_saveexec_b64 s[14:15], s[2:3]
	s_cbranch_execz .LBB9_5
; %bb.2:
	s_load_dword s8, s[0:1], 0x2c
	v_mov_b32_e32 v4, 0
	s_mov_b64 s[16:17], 0
	v_mov_b32_e32 v2, v0
	s_waitcnt lgkmcnt(0)
	s_and_b32 s8, s8, 0xffff
.LBB9_3:                                ; =>This Inner Loop Header: Depth=1
	v_ashrrev_i32_e32 v3, 31, v2
	v_lshl_add_u64 v[6:7], v[2:3], 2, s[6:7]
	global_load_dword v1, v[6:7], off
	v_add_u32_e32 v2, s8, v2
	v_cmp_le_i32_e32 vcc, s9, v2
	s_or_b64 s[16:17], vcc, s[16:17]
	s_waitcnt vmcnt(0)
	v_fmac_f32_e32 v4, v1, v1
	s_andn2_b64 exec, exec, s[16:17]
	s_cbranch_execnz .LBB9_3
; %bb.4:
	s_or_b64 exec, exec, s[16:17]
.LBB9_5:
	s_or_b64 exec, exec, s[14:15]
	v_mbcnt_lo_u32_b32 v1, -1, 0
	v_mbcnt_hi_u32_b32 v7, -1, v1
	v_and_b32_e32 v1, 64, v7
	v_add_u32_e32 v8, 64, v1
	v_xor_b32_e32 v1, 32, v7
	v_cmp_lt_i32_e32 vcc, v1, v8
	v_xor_b32_e32 v3, 16, v7
	v_xor_b32_e32 v5, 8, v7
	v_cndmask_b32_e32 v1, v7, v1, vcc
	v_lshlrev_b32_e32 v1, 2, v1
	ds_bpermute_b32 v2, v1, v4
	v_cmp_lt_i32_e32 vcc, v3, v8
	v_xor_b32_e32 v6, 4, v7
	v_xor_b32_e32 v9, 2, v7
	;; [unrolled: 1-line block ×3, first 2 shown]
	s_waitcnt lgkmcnt(0)
	v_add_f32_e32 v4, v4, v2
	v_cndmask_b32_e32 v2, v7, v3, vcc
	v_lshlrev_b32_e32 v2, 2, v2
	ds_bpermute_b32 v3, v2, v4
	v_cmp_lt_i32_e32 vcc, v5, v8
	s_waitcnt lgkmcnt(0)
	v_add_f32_e32 v4, v4, v3
	v_cndmask_b32_e32 v3, v7, v5, vcc
	v_lshlrev_b32_e32 v3, 2, v3
	ds_bpermute_b32 v5, v3, v4
	v_cmp_lt_i32_e32 vcc, v6, v8
	;; [unrolled: 6-line block ×4, first 2 shown]
	v_and_b32_e32 v8, 63, v0
	s_waitcnt lgkmcnt(0)
	v_add_f32_e32 v5, v5, v9
	v_cndmask_b32_e32 v7, v7, v10, vcc
	v_lshlrev_b32_e32 v7, 2, v7
	ds_bpermute_b32 v9, v7, v5
	v_cmp_eq_u32_e32 vcc, 0, v8
	s_and_saveexec_b64 s[14:15], vcc
	s_cbranch_execz .LBB9_7
; %bb.6:
	s_waitcnt lgkmcnt(0)
	v_add_f32_e32 v5, v5, v9
	v_lshrrev_b32_e32 v9, 4, v0
	ds_write_b32 v9, v5
.LBB9_7:
	s_or_b64 exec, exec, s[14:15]
	s_waitcnt lgkmcnt(0)
	s_barrier
	s_load_dword s8, s[0:1], 0x2c
	v_mov_b32_e32 v5, 0
	s_waitcnt lgkmcnt(0)
	s_bfe_u32 s0, s8, 0xa0006
	v_cmp_gt_u32_e32 vcc, s0, v0
	s_and_saveexec_b64 s[0:1], vcc
	s_cbranch_execnz .LBB9_15
; %bb.8:
	s_or_b64 exec, exec, s[0:1]
	v_cmp_gt_u32_e32 vcc, 64, v0
	s_and_saveexec_b64 s[0:1], vcc
	s_cbranch_execnz .LBB9_16
.LBB9_9:
	s_or_b64 exec, exec, s[0:1]
	v_cmp_eq_u32_e32 vcc, 0, v0
	s_and_saveexec_b64 s[14:15], vcc
	s_cbranch_execz .LBB9_11
.LBB9_10:
	v_cvt_f32_i32_e32 v1, s9
	s_waitcnt lgkmcnt(0)
	v_div_scale_f32 v2, s[0:1], v1, v1, v5
	v_rcp_f32_e32 v3, v2
	v_div_scale_f32 v4, vcc, v5, v1, v5
	s_mov_b32 s0, 0xf800000
	v_fma_f32 v6, -v2, v3, 1.0
	v_fmac_f32_e32 v3, v6, v3
	v_mul_f32_e32 v6, v4, v3
	v_fma_f32 v7, -v2, v6, v4
	v_fmac_f32_e32 v6, v7, v3
	v_fma_f32 v2, -v2, v6, v4
	v_div_fmas_f32 v2, v2, v3, v6
	v_div_fixup_f32 v1, v2, v1, v5
	v_add_f32_e32 v1, 0x3727c5ac, v1
	v_mul_f32_e32 v2, 0x4f800000, v1
	v_cmp_gt_f32_e32 vcc, s0, v1
	s_nop 1
	v_cndmask_b32_e32 v1, v1, v2, vcc
	v_sqrt_f32_e32 v2, v1
	s_nop 0
	v_add_u32_e32 v3, -1, v2
	v_add_u32_e32 v4, 1, v2
	v_fma_f32 v5, -v3, v2, v1
	v_fma_f32 v6, -v4, v2, v1
	v_cmp_ge_f32_e64 s[0:1], 0, v5
	s_nop 1
	v_cndmask_b32_e64 v2, v2, v3, s[0:1]
	v_cmp_lt_f32_e64 s[0:1], 0, v6
	s_nop 1
	v_cndmask_b32_e64 v2, v2, v4, s[0:1]
	v_mul_f32_e32 v3, 0x37800000, v2
	v_cndmask_b32_e32 v2, v2, v3, vcc
	v_mov_b32_e32 v3, 0x260
	v_cmp_class_f32_e32 vcc, v1, v3
	s_nop 1
	v_cndmask_b32_e32 v1, v2, v1, vcc
	v_div_scale_f32 v2, s[0:1], v1, v1, 1.0
	v_rcp_f32_e32 v3, v2
	s_nop 0
	v_fma_f32 v4, -v2, v3, 1.0
	v_fmac_f32_e32 v3, v4, v3
	v_div_scale_f32 v4, vcc, 1.0, v1, 1.0
	v_mul_f32_e32 v5, v4, v3
	v_fma_f32 v6, -v2, v5, v4
	v_fmac_f32_e32 v5, v6, v3
	v_fma_f32 v2, -v2, v5, v4
	v_div_fmas_f32 v2, v2, v3, v5
	v_div_fixup_f32 v1, v2, v1, 1.0
	v_mov_b32_e32 v2, 0
	ds_write_b32 v2, v1 offset:64
.LBB9_11:
	s_or_b64 exec, exec, s[14:15]
	s_waitcnt lgkmcnt(0)
	s_barrier
	s_and_saveexec_b64 s[0:1], s[2:3]
	s_cbranch_execz .LBB9_14
; %bb.12:
	v_mov_b32_e32 v1, 0
	ds_read_b32 v2, v1 offset:64
	s_and_b32 s8, 0xffff, s8
	s_add_u32 s0, s4, s12
	s_addc_u32 s1, s5, s13
	s_mov_b64 s[2:3], 0
.LBB9_13:                               ; =>This Inner Loop Header: Depth=1
	v_ashrrev_i32_e32 v1, 31, v0
	v_lshl_add_u64 v[4:5], v[0:1], 1, s[10:11]
	global_load_ushort v3, v[4:5], off
	v_lshlrev_b64 v[4:5], 2, v[0:1]
	v_lshl_add_u64 v[6:7], s[6:7], 0, v[4:5]
	global_load_dword v1, v[6:7], off
	v_add_u32_e32 v0, s8, v0
	v_cmp_le_i32_e32 vcc, s9, v0
	v_lshl_add_u64 v[4:5], s[0:1], 0, v[4:5]
	s_or_b64 s[2:3], vcc, s[2:3]
	s_waitcnt vmcnt(1)
	v_lshlrev_b32_e32 v3, 16, v3
	s_waitcnt lgkmcnt(0)
	v_mul_f32_e32 v3, v2, v3
	s_waitcnt vmcnt(0)
	v_mul_f32_e32 v1, v1, v3
	global_store_dword v[4:5], v1, off
	s_andn2_b64 exec, exec, s[2:3]
	s_cbranch_execnz .LBB9_13
.LBB9_14:
	s_endpgm
.LBB9_15:
	v_lshlrev_b32_e32 v5, 2, v8
	ds_read_b32 v5, v5
	s_or_b64 exec, exec, s[0:1]
	v_cmp_gt_u32_e32 vcc, 64, v0
	s_and_saveexec_b64 s[0:1], vcc
	s_cbranch_execz .LBB9_9
.LBB9_16:
	s_waitcnt lgkmcnt(0)
	ds_bpermute_b32 v1, v1, v5
	s_waitcnt lgkmcnt(0)
	v_add_f32_e32 v1, v5, v1
	ds_bpermute_b32 v2, v2, v1
	s_waitcnt lgkmcnt(0)
	v_add_f32_e32 v1, v1, v2
	;; [unrolled: 3-line block ×6, first 2 shown]
	s_or_b64 exec, exec, s[0:1]
	v_cmp_eq_u32_e32 vcc, 0, v0
	s_and_saveexec_b64 s[14:15], vcc
	s_cbranch_execnz .LBB9_10
	s_branch .LBB9_11
	.section	.rodata,"a",@progbits
	.p2align	6, 0x0
	.amdhsa_kernel _Z14rmsnorm_kernelPfS_P14__hip_bfloat16ii
		.amdhsa_group_segment_fixed_size 68
		.amdhsa_private_segment_fixed_size 0
		.amdhsa_kernarg_size 288
		.amdhsa_user_sgpr_count 2
		.amdhsa_user_sgpr_dispatch_ptr 0
		.amdhsa_user_sgpr_queue_ptr 0
		.amdhsa_user_sgpr_kernarg_segment_ptr 1
		.amdhsa_user_sgpr_dispatch_id 0
		.amdhsa_user_sgpr_kernarg_preload_length 0
		.amdhsa_user_sgpr_kernarg_preload_offset 0
		.amdhsa_user_sgpr_private_segment_size 0
		.amdhsa_uses_dynamic_stack 0
		.amdhsa_enable_private_segment 0
		.amdhsa_system_sgpr_workgroup_id_x 1
		.amdhsa_system_sgpr_workgroup_id_y 0
		.amdhsa_system_sgpr_workgroup_id_z 0
		.amdhsa_system_sgpr_workgroup_info 0
		.amdhsa_system_vgpr_workitem_id 0
		.amdhsa_next_free_vgpr 11
		.amdhsa_next_free_sgpr 18
		.amdhsa_accum_offset 12
		.amdhsa_reserve_vcc 1
		.amdhsa_float_round_mode_32 0
		.amdhsa_float_round_mode_16_64 0
		.amdhsa_float_denorm_mode_32 3
		.amdhsa_float_denorm_mode_16_64 3
		.amdhsa_dx10_clamp 1
		.amdhsa_ieee_mode 1
		.amdhsa_fp16_overflow 0
		.amdhsa_tg_split 0
		.amdhsa_exception_fp_ieee_invalid_op 0
		.amdhsa_exception_fp_denorm_src 0
		.amdhsa_exception_fp_ieee_div_zero 0
		.amdhsa_exception_fp_ieee_overflow 0
		.amdhsa_exception_fp_ieee_underflow 0
		.amdhsa_exception_fp_ieee_inexact 0
		.amdhsa_exception_int_div_zero 0
	.end_amdhsa_kernel
	.text
.Lfunc_end9:
	.size	_Z14rmsnorm_kernelPfS_P14__hip_bfloat16ii, .Lfunc_end9-_Z14rmsnorm_kernelPfS_P14__hip_bfloat16ii
                                        ; -- End function
	.set _Z14rmsnorm_kernelPfS_P14__hip_bfloat16ii.num_vgpr, 11
	.set _Z14rmsnorm_kernelPfS_P14__hip_bfloat16ii.num_agpr, 0
	.set _Z14rmsnorm_kernelPfS_P14__hip_bfloat16ii.numbered_sgpr, 18
	.set _Z14rmsnorm_kernelPfS_P14__hip_bfloat16ii.num_named_barrier, 0
	.set _Z14rmsnorm_kernelPfS_P14__hip_bfloat16ii.private_seg_size, 0
	.set _Z14rmsnorm_kernelPfS_P14__hip_bfloat16ii.uses_vcc, 1
	.set _Z14rmsnorm_kernelPfS_P14__hip_bfloat16ii.uses_flat_scratch, 0
	.set _Z14rmsnorm_kernelPfS_P14__hip_bfloat16ii.has_dyn_sized_stack, 0
	.set _Z14rmsnorm_kernelPfS_P14__hip_bfloat16ii.has_recursion, 0
	.set _Z14rmsnorm_kernelPfS_P14__hip_bfloat16ii.has_indirect_call, 0
	.section	.AMDGPU.csdata,"",@progbits
; Kernel info:
; codeLenInByte = 1108
; TotalNumSgprs: 24
; NumVgprs: 11
; NumAgprs: 0
; TotalNumVgprs: 11
; ScratchSize: 0
; MemoryBound: 0
; FloatMode: 240
; IeeeMode: 1
; LDSByteSize: 68 bytes/workgroup (compile time only)
; SGPRBlocks: 2
; VGPRBlocks: 1
; NumSGPRsForWavesPerEU: 24
; NumVGPRsForWavesPerEU: 11
; AccumOffset: 12
; Occupancy: 8
; WaveLimiterHint : 0
; COMPUTE_PGM_RSRC2:SCRATCH_EN: 0
; COMPUTE_PGM_RSRC2:USER_SGPR: 2
; COMPUTE_PGM_RSRC2:TRAP_HANDLER: 0
; COMPUTE_PGM_RSRC2:TGID_X_EN: 1
; COMPUTE_PGM_RSRC2:TGID_Y_EN: 0
; COMPUTE_PGM_RSRC2:TGID_Z_EN: 0
; COMPUTE_PGM_RSRC2:TIDIG_COMP_CNT: 0
; COMPUTE_PGM_RSRC3_GFX90A:ACCUM_OFFSET: 2
; COMPUTE_PGM_RSRC3_GFX90A:TG_SPLIT: 0
	.text
	.protected	_Z14rope_qk_kernelPfPviiiiiiiPKiiS2_xfffffPKxS2_S2_ ; -- Begin function _Z14rope_qk_kernelPfPviiiiiiiPKiiS2_xfffffPKxS2_S2_
	.globl	_Z14rope_qk_kernelPfPviiiiiiiPKiiS2_xfffffPKxS2_S2_
	.p2align	8
	.type	_Z14rope_qk_kernelPfPviiiiiiiPKiiS2_xfffffPKxS2_S2_,@function
_Z14rope_qk_kernelPfPviiiiiiiPKiiS2_xfffffPKxS2_S2_: ; @_Z14rope_qk_kernelPfPviiiiiiiPKiiS2_xfffffPKxS2_S2_
; %bb.0:
	s_mov_b32 s36, s3
	s_load_dwordx4 s[24:27], s[0:1], 0x10
	s_load_dword s3, s[0:1], 0x8c
	s_waitcnt lgkmcnt(0)
	s_ashr_i32 s22, s27, 1
	s_and_b32 s3, s3, 0xffff
	s_mul_i32 s2, s2, s3
	v_add_u32_e32 v0, s2, v0
	s_cmp_lt_i32 s36, s24
	s_cselect_b64 s[2:3], -1, 0
	v_cmp_gt_i32_e32 vcc, s22, v0
	s_and_b64 s[2:3], s[2:3], vcc
	s_and_saveexec_b64 s[4:5], s[2:3]
	s_cbranch_execz .LBB10_20
; %bb.1:
	v_cvt_f32_i32_e32 v1, s27
	s_load_dwordx2 s[2:3], s[0:1], 0x40
	s_load_dwordx2 s[4:5], s[0:1], 0x30
	s_load_dwordx4 s[28:31], s[0:1], 0x50
	s_mov_b32 s48, 0x3f2aaaab
	s_mov_b32 s47, 0x3f317218
	v_div_scale_f32 v2, s[8:9], v1, v1, -2.0
	v_rcp_f32_e32 v3, v2
	s_waitcnt lgkmcnt(0)
	v_cmp_eq_f32_e64 s[38:39], s28, 1.0
	s_ashr_i32 s37, s36, 31
	s_lshl_b64 s[6:7], s[36:37], 2
	v_fma_f32 v4, -v2, v3, 1.0
	v_fmac_f32_e32 v3, v4, v3
	v_div_scale_f32 v4, vcc, -2.0, v1, -2.0
	v_mul_f32_e32 v5, v4, v3
	v_fma_f32 v6, -v2, v5, v4
	v_fmac_f32_e32 v5, v6, v3
	v_fma_f32 v4, -v2, v5, v4
	v_cvt_f32_i32_e32 v2, v0
	v_div_fmas_f32 v3, v4, v3, v5
	v_div_fixup_f32 v3, v3, v1, -2.0
	s_add_u32 s4, s4, s6
	v_mul_f32_e32 v3, v3, v2
	v_cndmask_b32_e64 v5, v3, 1.0, s[38:39]
	v_mov_b32_e32 v3, s28
	v_cmp_neq_f32_e32 vcc, 0, v5
	s_movk_i32 s23, 0x204
	s_addc_u32 s5, s5, s7
	v_cndmask_b32_e32 v4, 1.0, v3, vcc
	v_frexp_mant_f32_e64 v3, |v4|
	v_cmp_gt_f32_e32 vcc, s48, v3
	s_load_dword s24, s[4:5], 0x0
	s_mov_b32 s44, 0x42b17218
	v_cndmask_b32_e64 v6, 1.0, 2.0, vcc
	v_mul_f32_e32 v3, v3, v6
	v_add_f32_e32 v6, 1.0, v3
	v_rcp_f32_e32 v14, v6
	v_add_f32_e32 v7, -1.0, v6
	v_sub_f32_e32 v9, v3, v7
	v_add_f32_e32 v7, -1.0, v3
	v_mul_f32_e32 v3, v7, v14
	v_mul_f32_e32 v8, v6, v3
	v_fma_f32 v10, v3, v6, -v8
	v_fmac_f32_e32 v10, v3, v9
	v_add_f32_e32 v6, v8, v10
	v_sub_f32_e32 v9, v7, v6
	v_pk_add_f32 v[12:13], v[6:7], v[8:9] neg_lo:[0,1] neg_hi:[0,1]
	v_mov_b32_e32 v11, v6
	v_pk_add_f32 v[6:7], v[12:13], v[10:11] neg_lo:[0,1] neg_hi:[0,1]
	v_mov_b32_e32 v8, 0x3e91f4c4
	v_add_f32_e32 v6, v6, v7
	v_add_f32_e32 v6, v9, v6
	v_mul_f32_e32 v6, v14, v6
	v_add_f32_e32 v10, v3, v6
	v_sub_f32_e32 v3, v10, v3
	v_sub_f32_e32 v3, v6, v3
	v_mul_f32_e32 v6, v10, v10
	v_fma_f32 v9, v10, v10, -v6
	v_add_f32_e32 v7, v3, v3
	v_fmac_f32_e32 v9, v10, v7
	v_add_f32_e32 v12, v6, v9
	v_fmamk_f32 v11, v12, 0x3e76c4e1, v8
	v_fmaak_f32 v11, v12, v11, 0x3ecccdef
	v_sub_f32_e32 v6, v12, v6
	v_sub_f32_e32 v6, v9, v6
	v_mul_f32_e32 v9, v12, v11
	v_fma_f32 v13, v12, v11, -v9
	v_fmac_f32_e32 v13, v6, v11
	v_add_f32_e32 v14, v9, v13
	v_sub_f32_e32 v9, v14, v9
	v_add_f32_e32 v15, 0x3f2aaaaa, v14
	v_sub_f32_e32 v9, v13, v9
	v_add_f32_e32 v11, 0x31739010, v9
	v_add_f32_e32 v9, 0xbf2aaaaa, v15
	v_sub_f32_e32 v13, v14, v9
	v_pk_mul_f32 v[16:17], v[10:11], v[12:13]
	v_pk_add_f32 v[18:19], v[10:11], v[12:13]
	v_fma_f32 v14, v12, v10, -v16
	v_fmac_f32_e32 v14, v12, v3
	v_mov_b32_e32 v17, v19
	v_fmac_f32_e32 v14, v6, v10
	v_pk_add_f32 v[12:13], v[16:17], v[14:15]
	v_ldexp_f32 v3, v3, 1
	v_sub_f32_e32 v9, v15, v13
	v_add_f32_e32 v9, v19, v9
	v_cvt_f64_f32_e64 v[18:19], |v4|
	v_frexp_exp_i32_f64_e32 v11, v[18:19]
	v_subbrev_co_u32_e32 v11, vcc, 0, v11, vcc
	v_cvt_f32_i32_e32 v11, v11
	v_sub_f32_e32 v6, v12, v16
	v_sub_f32_e32 v6, v14, v6
	v_pk_mul_f32 v[14:15], v[12:13], v[12:13] op_sel:[0,1] op_sel_hi:[1,0]
	v_ldexp_f32 v19, v10, 1
	v_fma_f32 v16, v12, v13, -v14
	v_fmac_f32_e32 v16, v12, v9
	v_mul_f32_e32 v12, 0x3f317218, v11
	v_fmac_f32_e32 v16, v6, v13
	v_fma_f32 v18, v11, s47, -v12
	v_fmac_f32_e32 v18, 0xb102e308, v11
	v_add_f32_e32 v13, v14, v16
	v_pk_add_f32 v[10:11], v[12:13], v[18:19]
	v_mov_b32_e32 v20, v13
	v_mov_b32_e32 v21, v11
	;; [unrolled: 1-line block ×3, first 2 shown]
	v_pk_add_f32 v[14:15], v[20:21], v[14:15] neg_lo:[0,1] neg_hi:[0,1]
	v_mov_b32_e32 v17, v13
	v_pk_add_f32 v[14:15], v[16:17], v[14:15] neg_lo:[0,1] neg_hi:[0,1]
	v_mov_b32_e32 v19, v10
	v_add_f32_e32 v3, v3, v14
	v_add_f32_e32 v13, v3, v15
	v_pk_add_f32 v[14:15], v[10:11], v[12:13] neg_lo:[0,1] neg_hi:[0,1]
	v_pk_add_f32 v[16:17], v[10:11], v[12:13]
	v_mov_b32_e32 v12, v13
	v_mov_b32_e32 v15, v17
	v_pk_add_f32 v[20:21], v[18:19], v[14:15] neg_lo:[0,1] neg_hi:[0,1]
	v_pk_add_f32 v[14:15], v[18:19], v[14:15]
	v_mov_b32_e32 v13, v10
	v_pk_add_f32 v[18:19], v[14:15], v[10:11] op_sel:[1,0] op_sel_hi:[0,1] neg_lo:[0,1] neg_hi:[0,1]
	v_pk_add_f32 v[22:23], v[16:17], v[18:19] op_sel_hi:[1,0] neg_lo:[0,1] neg_hi:[0,1]
	v_mov_b32_e32 v16, v17
	v_mov_b32_e32 v17, v15
	v_pk_mov_b32 v[18:19], v[10:11], v[18:19] op_sel:[1,0]
	v_mov_b32_e32 v22, v20
	v_pk_add_f32 v[16:17], v[16:17], v[18:19] neg_lo:[0,1] neg_hi:[0,1]
	v_mov_b32_e32 v21, v15
	v_pk_add_f32 v[10:11], v[12:13], v[16:17] neg_lo:[0,1] neg_hi:[0,1]
	s_add_u32 s34, s2, s6
	v_pk_add_f32 v[12:13], v[22:23], v[10:11]
	s_addc_u32 s35, s3, s7
	v_pk_add_f32 v[16:17], v[12:13], v[12:13] op_sel:[0,1] op_sel_hi:[1,0]
	s_mov_b32 s37, 0x7f800000
	v_pk_add_f32 v[14:15], v[14:15], v[16:17] op_sel:[1,0] op_sel_hi:[0,1]
	v_mov_b32_e32 v13, v14
	v_pk_add_f32 v[18:19], v[12:13], v[20:21] neg_lo:[0,1] neg_hi:[0,1]
	v_mov_b32_e32 v11, v16
	v_sub_f32_e32 v3, v12, v18
	v_pk_add_f32 v[10:11], v[10:11], v[18:19] neg_lo:[0,1] neg_hi:[0,1]
	v_sub_f32_e32 v3, v20, v3
	v_add_f32_e32 v3, v10, v3
	v_add_f32_e32 v3, v3, v11
	;; [unrolled: 1-line block ×3, first 2 shown]
	v_sub_f32_e32 v9, v6, v14
	v_mul_f32_e32 v10, v5, v6
	v_sub_f32_e32 v9, v3, v9
	v_fma_f32 v3, v5, v6, -v10
	v_fmac_f32_e32 v3, v5, v9
	v_add_f32_e32 v11, v10, v3
	v_cmp_class_f32_e64 vcc, v10, s23
	v_mov_b32_e32 v9, 0x37000000
	v_trunc_f32_e32 v13, v5
	v_cndmask_b32_e32 v12, v11, v10, vcc
	v_cmp_eq_f32_e32 vcc, s44, v12
	v_cmp_eq_f32_e64 s[6:7], v13, v5
	v_mul_f32_e32 v13, 0.5, v5
	v_cndmask_b32_e32 v6, 0, v9, vcc
	v_cmp_neq_f32_e64 s[10:11], |v12|, s37
	v_sub_f32_e32 v12, v12, v6
	s_mov_b32 s45, 0xc2ce8ed0
	v_trunc_f32_e32 v14, v13
	v_cmp_ngt_f32_e64 s[50:51], s29, 1.0
	v_mov_b32_e32 v7, 0x3ecccdef
	s_mov_b32 s46, 0x3fb8aa3b
	v_cmp_ngt_f32_e64 s[20:21], s45, v12
	v_cmp_nlt_f32_e64 s[18:19], s44, v12
	v_cmp_neq_f32_e64 s[16:17], v14, v13
	s_brev_b32 s33, -2
	v_cmp_gt_f32_e64 s[14:15], 0, v4
	v_cmp_neq_f32_e64 s[40:41], v5, |v5|
	v_cmp_lt_f32_e64 s[42:43], |v4|, 1.0
	v_cmp_neq_f32_e64 s[12:13], |v4|, 1.0
	v_cmp_eq_f32_e64 s[2:3], 0, v4
	v_cmp_gt_f32_e64 s[8:9], 0, v5
	v_cmp_o_f32_e64 s[4:5], v4, v5
	s_and_b64 vcc, exec, s[50:51]
	s_cbranch_vccnz .LBB10_3
; %bb.2:
	v_mov_b32_e32 v3, 0x800000
	v_mov_b32_e32 v4, 0x41b17218
	v_cmp_lt_f32_e32 vcc, s29, v3
	s_and_b64 s[2:3], vcc, exec
	s_cselect_b32 s4, 32, 0
	v_cndmask_b32_e32 v6, 0, v4, vcc
	v_cmp_lt_f32_e32 vcc, s28, v3
	s_and_b64 s[2:3], vcc, exec
	v_mov_b32_e32 v12, 0x40c90fdb
	s_cselect_b32 s2, 32, 0
	v_mul_f32_e32 v13, s31, v12
	v_mov_b32_e32 v5, s2
	v_div_scale_f32 v14, s[2:3], v13, v13, s30
	v_rcp_f32_e32 v15, v14
	v_cndmask_b32_e32 v3, 0, v4, vcc
	v_ldexp_f32 v5, s28, v5
	v_log_f32_e32 v5, v5
	v_fma_f32 v16, -v14, v15, 1.0
	v_fmac_f32_e32 v15, v16, v15
	v_div_scale_f32 v16, vcc, s30, v13, s30
	v_mul_f32_e32 v17, v16, v15
	v_fma_f32 v18, -v14, v17, v16
	v_fmac_f32_e32 v17, v18, v15
	v_fma_f32 v14, -v14, v17, v16
	v_div_fmas_f32 v14, v14, v15, v17
	s_mov_b32 s5, 0x800000
	v_div_fixup_f32 v13, v14, v13, s30
	v_cmp_gt_f32_e32 vcc, s5, v13
	s_and_b64 s[2:3], vcc, exec
	s_cselect_b32 s2, 32, 0
	s_mov_b32 s6, 0x3f317217
	v_mul_f32_e32 v10, 0x3f317217, v5
	v_ldexp_f32 v13, v13, s2
	v_fma_f32 v10, v5, s6, -v10
	v_log_f32_e32 v13, v13
	v_fmac_f32_e32 v10, 0x3377d1cf, v5
	v_fmac_f32_e32 v10, 0x3f317217, v5
	v_cndmask_b32_e32 v14, 0, v4, vcc
	v_cmp_lt_f32_e64 vcc, |v5|, s37
	v_cvt_f32_i32_e32 v11, s22
	s_nop 0
	v_cndmask_b32_e32 v5, v5, v10, vcc
	v_sub_f32_e32 v3, v5, v3
	v_mul_f32_e32 v5, 0x3f317217, v13
	v_fma_f32 v5, v13, s6, -v5
	v_fmac_f32_e32 v5, 0x3377d1cf, v13
	v_fmac_f32_e32 v5, 0x3f317217, v13
	v_cmp_lt_f32_e64 vcc, |v13|, s37
	s_nop 1
	v_cndmask_b32_e32 v5, v13, v5, vcc
	v_sub_f32_e32 v5, v5, v14
	v_mul_f32_e32 v5, v5, v11
	v_div_scale_f32 v10, s[2:3], v3, v3, v5
	v_rcp_f32_e32 v13, v10
	s_load_dword s2, s[0:1], 0x60
	v_fma_f32 v14, -v10, v13, 1.0
	v_fmac_f32_e32 v13, v14, v13
	v_div_scale_f32 v14, vcc, v5, v3, v5
	v_mul_f32_e32 v15, v14, v13
	v_fma_f32 v16, -v10, v15, v14
	s_waitcnt lgkmcnt(0)
	v_mul_f32_e32 v12, s2, v12
	v_fmac_f32_e32 v15, v16, v13
	v_div_scale_f32 v16, s[2:3], v12, v12, s30
	v_rcp_f32_e32 v17, v16
	v_fma_f32 v10, -v10, v15, v14
	v_div_fmas_f32 v13, v10, v13, v15
	v_fma_f32 v10, -v16, v17, 1.0
	v_fmac_f32_e32 v17, v10, v17
	v_div_scale_f32 v10, vcc, s30, v12, s30
	v_mul_f32_e32 v14, v10, v17
	v_fma_f32 v15, -v16, v14, v10
	v_fmac_f32_e32 v14, v15, v17
	v_fma_f32 v10, -v16, v14, v10
	v_div_fmas_f32 v10, v10, v17, v14
	v_div_fixup_f32 v10, v10, v12, s30
	v_cmp_gt_f32_e32 vcc, s5, v10
	s_and_b64 s[2:3], vcc, exec
	s_cselect_b32 s2, 32, 0
	v_ldexp_f32 v10, v10, s2
	v_log_f32_e32 v12, v10
	v_cndmask_b32_e32 v4, 0, v4, vcc
	v_mov_b32_e32 v10, s4
	v_ldexp_f32 v10, s29, v10
	v_mul_f32_e32 v14, 0x3f317217, v12
	v_fma_f32 v14, v12, s6, -v14
	v_fmac_f32_e32 v14, 0x3377d1cf, v12
	v_fmac_f32_e32 v14, 0x3f317217, v12
	v_cmp_lt_f32_e64 vcc, |v12|, s37
	v_log_f32_e32 v10, v10
	s_nop 0
	v_cndmask_b32_e32 v12, v12, v14, vcc
	v_sub_f32_e32 v4, v12, v4
	v_mul_f32_e32 v11, v4, v11
	v_div_scale_f32 v12, s[2:3], v3, v3, v11
	v_rcp_f32_e32 v14, v12
	v_div_fixup_f32 v4, v13, v3, v5
	v_mul_f32_e32 v15, 0x3f317217, v10
	v_fma_f32 v5, -v12, v14, 1.0
	v_fmac_f32_e32 v14, v5, v14
	v_div_scale_f32 v5, vcc, v11, v3, v11
	v_mul_f32_e32 v13, v5, v14
	v_fma_f32 v16, -v12, v13, v5
	v_fmac_f32_e32 v13, v16, v14
	v_fma_f32 v5, -v12, v13, v5
	v_div_fmas_f32 v5, v5, v14, v13
	v_div_fixup_f32 v3, v5, v3, v11
	v_pk_add_f32 v[4:5], v[2:3], v[4:5] op_sel_hi:[1,0] neg_lo:[0,1] neg_hi:[0,1]
	v_fma_f32 v3, v10, s6, -v15
	v_div_scale_f32 v11, s[2:3], v5, v5, v4
	v_rcp_f32_e32 v12, v11
	v_add_f32_e32 v2, v2, v2
	v_fmac_f32_e32 v3, 0x3377d1cf, v10
	v_fmac_f32_e32 v3, 0x3f317217, v10
	v_fma_f32 v13, -v11, v12, 1.0
	v_fmac_f32_e32 v12, v13, v12
	v_div_scale_f32 v13, vcc, v4, v5, v4
	v_mul_f32_e32 v14, v13, v12
	v_fma_f32 v15, -v11, v14, v13
	v_fmac_f32_e32 v14, v15, v12
	v_div_scale_f32 v15, s[2:3], v1, v1, v2
	v_rcp_f32_e32 v16, v15
	v_fma_f32 v11, -v11, v14, v13
	v_div_fmas_f32 v11, v11, v12, v14
	v_div_fixup_f32 v5, v11, v5, v4 clamp
	v_fma_f32 v12, -v15, v16, 1.0
	v_fmac_f32_e32 v16, v12, v16
	v_div_scale_f32 v12, vcc, v2, v1, v2
	v_mul_f32_e32 v13, v12, v16
	v_fma_f32 v14, -v15, v13, v12
	v_fmac_f32_e32 v13, v14, v16
	v_fma_f32 v12, -v15, v13, v12
	v_div_fmas_f32 v12, v12, v16, v13
	v_div_fixup_f32 v1, v12, v1, v2
	v_cndmask_b32_e64 v1, v1, 1.0, s[38:39]
	v_mov_b32_e32 v2, s28
	v_cmp_neq_f32_e32 vcc, 0, v1
	v_cmp_neq_f32_e64 s[4:5], v1, |v1|
	s_nop 0
	v_cndmask_b32_e32 v2, 1.0, v2, vcc
	v_frexp_mant_f32_e64 v12, |v2|
	v_cmp_gt_f32_e32 vcc, s48, v12
	v_cmp_lt_f32_e64 s[6:7], |v2|, 1.0
	s_xor_b64 s[4:5], s[4:5], s[6:7]
	v_cndmask_b32_e64 v13, 1.0, 2.0, vcc
	v_mul_f32_e32 v12, v12, v13
	v_add_f32_e32 v15, 1.0, v12
	v_rcp_f32_e32 v20, v15
	v_add_f32_e32 v13, -1.0, v15
	v_sub_f32_e32 v17, v12, v13
	v_add_f32_e32 v13, -1.0, v12
	v_mul_f32_e32 v21, v13, v20
	v_mul_f32_e32 v14, v15, v21
	v_fma_f32 v16, v21, v15, -v14
	v_fmac_f32_e32 v16, v21, v17
	v_add_f32_e32 v12, v14, v16
	v_sub_f32_e32 v15, v13, v12
	v_pk_add_f32 v[18:19], v[12:13], v[14:15] neg_lo:[0,1] neg_hi:[0,1]
	v_mov_b32_e32 v17, v12
	v_pk_add_f32 v[12:13], v[18:19], v[16:17] neg_lo:[0,1] neg_hi:[0,1]
	v_cmp_class_f32_e64 s[6:7], v2, s23
	v_add_f32_e32 v12, v12, v13
	v_add_f32_e32 v12, v15, v12
	v_mul_f32_e32 v13, v20, v12
	v_add_f32_e32 v12, v21, v13
	v_sub_f32_e32 v14, v12, v21
	v_sub_f32_e32 v22, v13, v14
	v_mul_f32_e32 v13, v12, v12
	v_fma_f32 v15, v12, v12, -v13
	v_add_f32_e32 v14, v22, v22
	v_fmac_f32_e32 v15, v12, v14
	v_add_f32_e32 v14, v13, v15
	v_fmac_f32_e32 v8, 0x3e76c4e1, v14
	v_fmac_f32_e32 v7, v14, v8
	v_sub_f32_e32 v8, v14, v13
	v_mul_f32_e32 v13, v14, v7
	v_sub_f32_e32 v8, v15, v8
	v_fma_f32 v15, v14, v7, -v13
	v_fmac_f32_e32 v15, v8, v7
	v_add_f32_e32 v7, v13, v15
	v_add_f32_e32 v17, 0x3f2aaaaa, v7
	v_sub_f32_e32 v13, v7, v13
	v_sub_f32_e32 v13, v15, v13
	v_add_f32_e32 v15, 0xbf2aaaaa, v17
	v_add_f32_e32 v13, 0x31739010, v13
	v_sub_f32_e32 v15, v7, v15
	v_pk_mul_f32 v[18:19], v[12:13], v[14:15]
	v_pk_add_f32 v[20:21], v[12:13], v[14:15]
	v_fma_f32 v16, v14, v12, -v18
	v_fmac_f32_e32 v16, v14, v22
	v_mov_b32_e32 v19, v21
	v_fmac_f32_e32 v16, v8, v12
	v_pk_add_f32 v[14:15], v[18:19], v[16:17]
	s_nop 0
	v_sub_f32_e32 v7, v14, v18
	v_cvt_f64_f32_e64 v[18:19], |v2|
	v_frexp_exp_i32_f64_e32 v13, v[18:19]
	v_subbrev_co_u32_e32 v13, vcc, 0, v13, vcc
	v_cvt_f32_i32_e32 v13, v13
	v_sub_f32_e32 v7, v16, v7
	v_sub_f32_e32 v8, v17, v15
	v_pk_mul_f32 v[16:17], v[14:15], v[14:15] op_sel:[0,1] op_sel_hi:[1,0]
	v_add_f32_e32 v8, v21, v8
	v_fma_f32 v18, v14, v15, -v16
	v_fmac_f32_e32 v18, v14, v8
	v_mul_f32_e32 v14, 0x3f317218, v13
	v_fmac_f32_e32 v18, v7, v15
	v_fma_f32 v20, v13, s47, -v14
	v_fmac_f32_e32 v20, 0xb102e308, v13
	v_ldexp_f32 v21, v12, 1
	v_add_f32_e32 v15, v16, v18
	v_pk_add_f32 v[12:13], v[14:15], v[20:21]
	v_ldexp_f32 v7, v22, 1
	v_mov_b32_e32 v22, v15
	v_mov_b32_e32 v23, v13
	;; [unrolled: 1-line block ×3, first 2 shown]
	v_pk_add_f32 v[16:17], v[22:23], v[16:17] neg_lo:[0,1] neg_hi:[0,1]
	v_mov_b32_e32 v19, v15
	v_pk_add_f32 v[16:17], v[18:19], v[16:17] neg_lo:[0,1] neg_hi:[0,1]
	v_mov_b32_e32 v21, v12
	v_add_f32_e32 v7, v7, v16
	v_add_f32_e32 v15, v7, v17
	v_pk_add_f32 v[16:17], v[12:13], v[14:15] neg_lo:[0,1] neg_hi:[0,1]
	v_pk_add_f32 v[18:19], v[12:13], v[14:15]
	v_mov_b32_e32 v14, v15
	v_mov_b32_e32 v17, v19
	v_pk_add_f32 v[22:23], v[20:21], v[16:17] neg_lo:[0,1] neg_hi:[0,1]
	v_pk_add_f32 v[16:17], v[20:21], v[16:17]
	v_mov_b32_e32 v15, v12
	v_pk_add_f32 v[20:21], v[16:17], v[12:13] op_sel:[1,0] op_sel_hi:[0,1] neg_lo:[0,1] neg_hi:[0,1]
	v_pk_add_f32 v[24:25], v[18:19], v[20:21] op_sel_hi:[1,0] neg_lo:[0,1] neg_hi:[0,1]
	v_mov_b32_e32 v18, v19
	v_mov_b32_e32 v19, v17
	v_pk_mov_b32 v[20:21], v[12:13], v[20:21] op_sel:[1,0]
	v_mov_b32_e32 v24, v22
	v_pk_add_f32 v[18:19], v[18:19], v[20:21] neg_lo:[0,1] neg_hi:[0,1]
	v_mov_b32_e32 v23, v17
	v_pk_add_f32 v[12:13], v[14:15], v[18:19] neg_lo:[0,1] neg_hi:[0,1]
	s_nop 0
	v_pk_add_f32 v[14:15], v[24:25], v[12:13]
	s_nop 0
	v_pk_add_f32 v[18:19], v[14:15], v[14:15] op_sel:[0,1] op_sel_hi:[1,0]
	s_nop 0
	v_pk_add_f32 v[16:17], v[16:17], v[18:19] op_sel:[1,0] op_sel_hi:[0,1]
	v_mov_b32_e32 v15, v16
	v_pk_add_f32 v[20:21], v[14:15], v[22:23] neg_lo:[0,1] neg_hi:[0,1]
	v_mov_b32_e32 v13, v18
	v_sub_f32_e32 v7, v14, v20
	v_pk_add_f32 v[12:13], v[12:13], v[20:21] neg_lo:[0,1] neg_hi:[0,1]
	v_sub_f32_e32 v7, v22, v7
	v_add_f32_e32 v7, v12, v7
	v_add_f32_e32 v7, v7, v13
	;; [unrolled: 1-line block ×3, first 2 shown]
	v_sub_f32_e32 v12, v8, v16
	v_sub_f32_e32 v7, v7, v12
	v_mul_f32_e32 v12, v1, v8
	v_fma_f32 v8, v1, v8, -v12
	v_fmac_f32_e32 v8, v1, v7
	v_add_f32_e32 v7, v12, v8
	v_cmp_class_f32_e64 vcc, v12, s23
	v_sub_f32_e32 v13, v7, v12
	v_sub_f32_e32 v8, v8, v13
	v_cndmask_b32_e32 v7, v7, v12, vcc
	v_cmp_eq_f32_e32 vcc, s44, v7
	s_nop 1
	v_cndmask_b32_e32 v9, 0, v9, vcc
	v_sub_f32_e32 v12, v7, v9
	v_mul_f32_e32 v13, 0x3fb8aa3b, v12
	v_fma_f32 v14, v12, s46, -v13
	v_rndne_f32_e32 v15, v13
	v_fmac_f32_e32 v14, 0x32a5705f, v12
	v_sub_f32_e32 v13, v13, v15
	v_add_f32_e32 v13, v13, v14
	v_exp_f32_e32 v13, v13
	v_cvt_i32_f32_e32 v14, v15
	v_cmp_neq_f32_e64 vcc, |v7|, s37
	s_nop 1
	v_cndmask_b32_e32 v7, 0, v8, vcc
	v_ldexp_f32 v8, v13, v14
	v_cmp_ngt_f32_e32 vcc, s45, v12
	v_add_f32_e32 v7, v9, v7
	v_mov_b32_e32 v9, 0x7f800000
	v_cndmask_b32_e32 v8, 0, v8, vcc
	v_cmp_nlt_f32_e32 vcc, s44, v12
	v_mov_b32_e32 v12, 0x7fc00000
	s_nop 0
	v_cndmask_b32_e32 v8, v9, v8, vcc
	v_fma_f32 v7, v8, v7, v8
	v_cmp_class_f32_e64 vcc, v8, s23
	s_nop 1
	v_cndmask_b32_e32 v7, v7, v8, vcc
	v_trunc_f32_e32 v8, v1
	v_cmp_eq_f32_e32 vcc, v8, v1
	v_mul_f32_e32 v8, 0.5, v1
	v_trunc_f32_e32 v13, v8
	v_cmp_neq_f32_e64 s[2:3], v13, v8
	s_and_b64 s[2:3], vcc, s[2:3]
	s_nop 0
	v_cndmask_b32_e64 v8, 1.0, v2, s[2:3]
	v_bfi_b32 v7, s33, v7, v8
	v_cndmask_b32_e32 v8, v12, v7, vcc
	v_cmp_gt_f32_e32 vcc, 0, v2
	s_nop 1
	v_cndmask_b32_e32 v7, v7, v8, vcc
	v_cndmask_b32_e64 v8, v9, 0, s[4:5]
	v_cmp_neq_f32_e64 vcc, |v2|, 1.0
	v_cmp_gt_f32_e64 s[4:5], 0, v1
	s_nop 0
	v_cndmask_b32_e32 v8, 1.0, v8, vcc
	v_cmp_class_f32_e64 vcc, v1, s23
	s_nop 1
	v_cndmask_b32_e32 v7, v7, v8, vcc
	v_cmp_eq_f32_e32 vcc, 0, v2
	s_xor_b64 s[4:5], s[4:5], vcc
	v_cndmask_b32_e64 v8, v9, 0, s[4:5]
	v_cndmask_b32_e64 v9, 0, v2, s[2:3]
	v_bfi_b32 v8, s33, v8, v9
	s_or_b64 vcc, vcc, s[6:7]
	v_cndmask_b32_e32 v7, v7, v8, vcc
	v_cmp_o_f32_e32 vcc, v2, v1
	s_nop 1
	v_cndmask_b32_e32 v1, v12, v7, vcc
	v_mul_f32_e32 v2, s29, v1
	v_div_scale_f32 v7, s[2:3], v2, v2, 1.0
	v_rcp_f32_e32 v8, v7
	v_cmp_lt_f32_e64 vcc, |v10|, s37
	v_fma_f32 v4, -v7, v8, 1.0
	s_nop 0
	v_cndmask_b32_e32 v3, v10, v3, vcc
	v_fmac_f32_e32 v8, v4, v8
	v_div_scale_f32 v4, vcc, 1.0, v2, 1.0
	v_sub_f32_e32 v3, v3, v6
	v_mul_f32_e32 v6, v4, v8
	v_fma_f32 v9, -v7, v6, v4
	v_fmac_f32_e32 v6, v9, v8
	v_fma_f32 v4, -v7, v6, v4
	v_div_scale_f32 v7, s[2:3], v1, v1, 1.0
	v_rcp_f32_e32 v9, v7
	v_div_fmas_f32 v4, v4, v8, v6
	v_div_fixup_f32 v2, v4, v2, 1.0
	v_fma_f32 v4, -v7, v9, 1.0
	v_fmac_f32_e32 v9, v4, v9
	v_div_scale_f32 v4, vcc, 1.0, v1, 1.0
	v_mul_f32_e32 v6, v4, v9
	v_fma_f32 v8, -v7, v6, v4
	v_fmac_f32_e32 v6, v8, v9
	v_fma_f32 v4, -v7, v6, v4
	v_div_fmas_f32 v4, v4, v9, v6
	v_div_fixup_f32 v4, v4, v1, 1.0
	v_mul_f32_e32 v6, v5, v2
	v_sub_f32_e32 v2, 1.0, v5
	v_mov_b32_e32 v5, 0x3dcccccd
	v_mov_b32_e32 v7, 1.0
	v_pk_fma_f32 v[2:3], v[2:3], v[4:5], v[6:7]
	s_branch .LBB10_4
.LBB10_3:
	v_mul_f32_e32 v2, 0x3fb8aa3b, v12
	v_fma_f32 v7, v12, s46, -v2
	v_rndne_f32_e32 v8, v2
	v_fmac_f32_e32 v7, 0x32a5705f, v12
	v_sub_f32_e32 v2, v2, v8
	v_add_f32_e32 v2, v2, v7
	v_exp_f32_e32 v2, v2
	v_cvt_i32_f32_e32 v7, v8
	v_sub_f32_e32 v1, v11, v10
	v_sub_f32_e32 v1, v3, v1
	v_cndmask_b32_e64 v1, 0, v1, s[10:11]
	v_ldexp_f32 v2, v2, v7
	v_add_f32_e32 v1, v6, v1
	v_cndmask_b32_e64 v2, 0, v2, s[20:21]
	v_mov_b32_e32 v6, 0x7f800000
	v_cndmask_b32_e64 v2, v6, v2, s[18:19]
	v_fma_f32 v1, v2, v1, v2
	v_cmp_class_f32_e64 vcc, v2, s23
	s_xor_b64 s[8:9], s[8:9], s[2:3]
	v_mov_b32_e32 v3, 1.0
	v_cndmask_b32_e32 v1, v1, v2, vcc
	s_and_b64 vcc, s[6:7], s[16:17]
	v_cndmask_b32_e32 v2, 1.0, v4, vcc
	v_bfi_b32 v1, s33, v1, v2
	v_mov_b32_e32 v2, 0x7fc00000
	v_cndmask_b32_e64 v7, v2, v1, s[6:7]
	s_xor_b64 s[6:7], s[40:41], s[42:43]
	v_cndmask_b32_e64 v1, v1, v7, s[14:15]
	v_cndmask_b32_e64 v7, v6, 0, s[6:7]
	v_cndmask_b32_e64 v7, 1.0, v7, s[12:13]
	v_cmp_class_f32_e64 s[6:7], v5, s23
	v_cndmask_b32_e64 v5, v6, 0, s[8:9]
	s_nop 0
	v_cndmask_b32_e64 v1, v1, v7, s[6:7]
	v_cmp_class_f32_e64 s[6:7], v4, s23
	v_cndmask_b32_e32 v4, 0, v4, vcc
	v_bfi_b32 v4, s33, v5, v4
	s_or_b64 vcc, s[2:3], s[6:7]
	v_cndmask_b32_e32 v1, v1, v4, vcc
	v_cndmask_b32_e64 v2, v2, v1, s[4:5]
.LBB10_4:
	s_waitcnt lgkmcnt(0)
	v_cvt_f32_i32_e32 v1, s24
	s_brev_b32 s2, 18
                                        ; implicit-def: $vgpr5
                                        ; implicit-def: $vgpr4
	v_mul_f32_e32 v1, v2, v1
	v_and_b32_e32 v2, 0x7fffffff, v1
	v_cmp_nlt_f32_e64 s[2:3], |v1|, s2
	s_and_saveexec_b64 s[4:5], s[2:3]
	s_xor_b64 s[8:9], exec, s[4:5]
	s_cbranch_execz .LBB10_6
; %bb.5:
	v_lshrrev_b32_e32 v4, 23, v2
	v_add_u32_e32 v4, 0xffffff88, v4
	v_not_b32_e32 v5, 63
	v_cmp_lt_u32_e32 vcc, 63, v4
	s_mov_b32 s6, 0xfe5163ab
	v_mov_b32_e32 v7, 0
	v_cndmask_b32_e32 v5, 0, v5, vcc
	v_add_u32_e32 v4, v5, v4
	v_not_b32_e32 v5, 31
	v_cmp_lt_u32_e64 s[2:3], 31, v4
	s_nop 1
	v_cndmask_b32_e64 v6, 0, v5, s[2:3]
	v_add_u32_e32 v4, v6, v4
	v_cmp_lt_u32_e64 s[4:5], 31, v4
	s_nop 1
	v_cndmask_b32_e64 v5, 0, v5, s[4:5]
	v_add_u32_e32 v18, v5, v4
	v_and_b32_e32 v4, 0x7fffff, v2
	v_or_b32_e32 v19, 0x800000, v4
	v_mad_u64_u32 v[4:5], s[6:7], v19, s6, 0
	v_mov_b32_e32 v6, v5
	s_mov_b32 s6, 0x3c439041
	v_mad_u64_u32 v[8:9], s[6:7], v19, s6, v[6:7]
	v_mov_b32_e32 v6, v9
	s_mov_b32 s6, 0xdb629599
	;; [unrolled: 3-line block ×6, first 2 shown]
	v_mad_u64_u32 v[6:7], s[6:7], v19, s6, v[6:7]
	v_cndmask_b32_e32 v5, v16, v12, vcc
	v_cndmask_b32_e32 v6, v6, v14, vcc
	;; [unrolled: 1-line block ×3, first 2 shown]
	v_cndmask_b32_e64 v9, v6, v5, s[2:3]
	v_cndmask_b32_e64 v6, v7, v6, s[2:3]
	v_cndmask_b32_e32 v7, v14, v10, vcc
	v_cndmask_b32_e64 v5, v5, v7, s[2:3]
	v_cndmask_b32_e32 v8, v12, v8, vcc
	v_cndmask_b32_e64 v6, v6, v9, s[4:5]
	v_cndmask_b32_e64 v9, v9, v5, s[4:5]
	v_sub_u32_e32 v11, 32, v18
	v_cndmask_b32_e64 v7, v7, v8, s[2:3]
	v_alignbit_b32 v13, v6, v9, v11
	v_cmp_eq_u32_e64 s[6:7], 0, v18
	v_cndmask_b32_e64 v5, v5, v7, s[4:5]
	v_alignbit_b32 v12, v9, v5, v11
	v_cndmask_b32_e64 v6, v13, v6, s[6:7]
	v_cndmask_b32_e32 v4, v10, v4, vcc
	v_cndmask_b32_e64 v9, v12, v9, s[6:7]
	v_bfe_u32 v14, v6, 29, 1
	v_cndmask_b32_e64 v4, v8, v4, s[2:3]
	v_alignbit_b32 v12, v6, v9, 30
	v_sub_u32_e32 v15, 0, v14
	v_cndmask_b32_e64 v4, v7, v4, s[4:5]
	v_xor_b32_e32 v12, v12, v15
	v_alignbit_b32 v7, v5, v4, v11
	v_cndmask_b32_e64 v5, v7, v5, s[6:7]
	v_ffbh_u32_e32 v8, v12
	v_alignbit_b32 v7, v9, v5, 30
	v_min_u32_e32 v8, 32, v8
	v_alignbit_b32 v4, v5, v4, 30
	v_xor_b32_e32 v7, v7, v15
	v_sub_u32_e32 v9, 31, v8
	v_xor_b32_e32 v4, v4, v15
	v_alignbit_b32 v10, v12, v7, v9
	v_alignbit_b32 v4, v7, v4, v9
	;; [unrolled: 1-line block ×3, first 2 shown]
	v_ffbh_u32_e32 v7, v5
	v_min_u32_e32 v7, 32, v7
	v_lshrrev_b32_e32 v13, 29, v6
	v_not_b32_e32 v9, v7
	v_alignbit_b32 v4, v5, v4, v9
	v_lshlrev_b32_e32 v5, 31, v13
	v_or_b32_e32 v9, 0x33000000, v5
	v_add_lshl_u32 v7, v7, v8, 23
	v_lshrrev_b32_e32 v4, 9, v4
	v_sub_u32_e32 v7, v9, v7
	v_or_b32_e32 v5, 0.5, v5
	v_lshlrev_b32_e32 v8, 23, v8
	v_or_b32_e32 v4, v7, v4
	v_lshrrev_b32_e32 v7, 9, v10
	v_sub_u32_e32 v5, v5, v8
	v_or_b32_e32 v5, v7, v5
	s_mov_b32 s2, 0x3fc90fda
	v_mul_f32_e32 v7, 0x3fc90fda, v5
	v_fma_f32 v8, v5, s2, -v7
	v_fmamk_f32 v5, v5, 0x33a22168, v8
	v_fmac_f32_e32 v5, 0x3fc90fda, v4
	v_add_f32_e32 v4, v7, v5
	v_lshrrev_b32_e32 v5, 30, v6
	v_add_u32_e32 v5, v14, v5
.LBB10_6:
	s_or_saveexec_b64 s[8:9], s[8:9]
	s_load_dwordx2 s[2:3], s[0:1], 0x78
	s_load_dwordx4 s[4:7], s[0:1], 0x68
	s_xor_b64 exec, exec, s[8:9]
	s_cbranch_execz .LBB10_8
; %bb.7:
	s_mov_b32 s10, 0x3f22f983
	v_mul_f32_e64 v4, |v1|, s10
	v_rndne_f32_e32 v4, v4
	s_mov_b32 s10, 0xbfc90fda
	v_cvt_i32_f32_e32 v5, v4
	v_fma_f32 v6, v4, s10, |v1|
	v_fmamk_f32 v6, v4, 0xb3a22168, v6
	v_fmamk_f32 v4, v4, 0xa7c234c4, v6
.LBB10_8:
	s_or_b64 exec, exec, s[8:9]
	v_mul_f32_e32 v6, v4, v4
	v_mov_b32_e32 v7, 0x3c0881c4
	v_fmac_f32_e32 v7, 0xb94c1982, v6
	v_fmaak_f32 v7, v6, v7, 0xbe2aaa9d
	v_mul_f32_e32 v7, v6, v7
	v_fmac_f32_e32 v4, v4, v7
	v_mov_b32_e32 v7, 0xbab64f3b
	v_fmac_f32_e32 v7, 0x37d75334, v6
	v_fmaak_f32 v7, v6, v7, 0x3d2aabf7
	v_fmaak_f32 v7, v6, v7, 0xbf000004
	v_fma_f32 v6, v6, v7, 1.0
	v_lshlrev_b32_e32 v7, 30, v5
	v_and_b32_e32 v5, 1, v5
	v_cmp_eq_u32_e32 vcc, 0, v5
	s_brev_b32 s8, 1
	v_xor_b32_e32 v2, v2, v1
	v_cndmask_b32_e32 v5, v6, v4, vcc
	v_xor_b32_e32 v4, 0x80000000, v4
	v_cndmask_b32_e32 v4, v4, v6, vcc
	v_and_b32_e32 v8, 0x80000000, v7
	v_xor_b32_e32 v2, v2, v5
	v_bitop3_b32 v4, v4, v7, s8 bitop3:0x78
	s_movk_i32 s8, 0x1f8
	v_xor_b32_e32 v2, v2, v8
	v_mov_b32_e32 v5, 0x7fc00000
	v_cmp_class_f32_e64 vcc, v1, s8
	s_cmp_lt_i32 s25, 1
	s_nop 0
	v_cndmask_b32_e32 v1, v5, v4, vcc
	v_cndmask_b32_e32 v2, v5, v2, vcc
	v_mul_f32_e32 v4, v3, v1
	v_mul_f32_e32 v5, v3, v2
	v_ashrrev_i32_e32 v1, 31, v0
	s_cbranch_scc1 .LBB10_11
; %bb.9:
	s_load_dwordx2 s[8:9], s[0:1], 0x0
	s_mul_i32 s10, s27, s25
	s_mul_hi_i32 s11, s10, s36
	s_mul_i32 s10, s10, s36
	s_lshl_b64 s[10:11], s[10:11], 2
	s_waitcnt lgkmcnt(0)
	s_add_u32 s8, s8, s10
	s_addc_u32 s9, s9, s11
	s_ashr_i32 s11, s27, 31
	s_mov_b32 s10, s27
	s_ashr_i32 s23, s22, 31
	v_lshl_add_u64 v[2:3], v[0:1], 2, s[8:9]
	s_lshl_b64 s[8:9], s[10:11], 2
	s_lshl_b64 s[10:11], s[22:23], 2
.LBB10_10:                              ; =>This Inner Loop Header: Depth=1
	v_lshl_add_u64 v[6:7], v[2:3], 0, s[10:11]
	global_load_dword v8, v[2:3], off
	global_load_dword v9, v[6:7], off
	s_add_i32 s25, s25, -1
	s_cmp_eq_u32 s25, 0
	s_waitcnt vmcnt(1)
	v_mul_f32_e32 v10, v4, v8
	s_waitcnt vmcnt(0)
	v_fma_f32 v10, -v9, v5, v10
	v_mul_f32_e32 v9, v4, v9
	global_store_dword v[2:3], v10, off
	v_fmac_f32_e32 v9, v8, v5
	v_lshl_add_u64 v[2:3], v[2:3], 0, s[8:9]
	global_store_dword v[6:7], v9, off
	s_cbranch_scc0 .LBB10_10
.LBB10_11:
	s_load_dwordx2 s[8:9], s[0:1], 0x24
	s_waitcnt lgkmcnt(0)
	s_ashr_i32 s11, s9, 31
	s_mov_b32 s10, s9
	s_lshl_b64 s[12:13], s[10:11], 3
	s_add_u32 s4, s4, s12
	s_addc_u32 s5, s5, s13
	s_lshl_b64 s[10:11], s[10:11], 2
	s_add_u32 s6, s6, s10
	s_addc_u32 s7, s7, s11
	s_add_u32 s10, s2, s10
	s_addc_u32 s11, s3, s11
	s_load_dword s3, s[10:11], 0x0
	s_load_dword s2, s[6:7], 0x0
	s_waitcnt lgkmcnt(0)
	s_cmp_lg_u32 s3, 0
	s_cbranch_scc0 .LBB10_13
; %bb.12:
	s_abs_i32 s3, s2
	v_cvt_f32_u32_e32 v2, s3
	s_sub_i32 s9, 0, s3
	s_abs_i32 s7, s24
	s_ashr_i32 s6, s24, 31
	v_rcp_iflag_f32_e32 v2, v2
	s_nop 0
	v_mul_f32_e32 v2, 0x4f7ffffe, v2
	v_cvt_u32_f32_e32 v2, v2
	s_nop 0
	v_readfirstlane_b32 s10, v2
	s_mul_i32 s9, s9, s10
	s_mul_hi_u32 s9, s10, s9
	s_add_i32 s10, s10, s9
	s_mul_hi_u32 s9, s7, s10
	s_mul_i32 s9, s9, s3
	s_sub_i32 s7, s7, s9
	s_sub_i32 s9, s7, s3
	s_cmp_ge_u32 s7, s3
	s_cselect_b32 s7, s9, s7
	s_sub_i32 s9, s7, s3
	s_cmp_ge_u32 s7, s3
	s_cselect_b32 s3, s9, s7
	s_xor_b32 s3, s3, s6
	s_sub_i32 s24, s3, s6
.LBB10_13:
	s_cmp_lt_i32 s26, 1
	s_cbranch_scc1 .LBB10_20
; %bb.14:
	s_load_dword s9, s[0:1], 0x38
	s_load_dwordx2 s[6:7], s[0:1], 0x8
	s_load_dword s3, s[34:35], 0x0
	s_load_dwordx2 s[10:11], s[4:5], 0x0
	s_waitcnt lgkmcnt(0)
	s_cmp_lg_u32 s9, 0
	s_cselect_b64 s[0:1], -1, 0
	s_ashr_i32 s4, s8, 31
	s_mul_hi_i32 s5, s2, s3
	s_mul_i32 s2, s2, s3
	s_ashr_i32 s3, s24, 31
	s_add_u32 s2, s2, s24
	s_addc_u32 s3, s5, s3
	s_mul_i32 s4, s2, s4
	s_mul_hi_u32 s5, s2, s8
	s_add_i32 s4, s5, s4
	s_mul_i32 s3, s3, s8
	s_add_i32 s4, s4, s3
	s_mul_i32 s2, s2, s8
	s_add_u32 s2, s2, s10
	s_addc_u32 s3, s4, s11
	s_cmp_eq_u32 s9, 0
	s_cselect_b32 s4, 2, 1
	s_lshl_b64 s[2:3], s[2:3], s4
	s_add_u32 s2, s6, s2
	s_addc_u32 s3, s7, s3
	s_ashr_i32 s7, s27, 31
	s_mov_b32 s6, s27
	s_ashr_i32 s23, s22, 31
	v_cndmask_b32_e64 v6, 0, 1, s[0:1]
	v_lshl_add_u64 v[2:3], v[0:1], 1, s[2:3]
	v_lshl_add_u64 v[0:1], v[0:1], 2, s[2:3]
	s_lshl_b64 s[2:3], s[6:7], 2
	s_lshl_b64 s[4:5], s[22:23], 2
	;; [unrolled: 1-line block ×4, first 2 shown]
	v_cmp_ne_u32_e64 s[0:1], 1, v6
	s_branch .LBB10_16
.LBB10_15:                              ;   in Loop: Header=BB10_16 Depth=1
	s_add_i32 s26, s26, -1
	v_lshl_add_u64 v[0:1], v[0:1], 0, s[2:3]
	s_cmp_lg_u32 s26, 0
	v_lshl_add_u64 v[2:3], v[2:3], 0, s[6:7]
	s_cbranch_scc0 .LBB10_20
.LBB10_16:                              ; =>This Inner Loop Header: Depth=1
	s_and_b64 vcc, exec, s[0:1]
	s_mov_b64 s[10:11], -1
	s_cbranch_vccnz .LBB10_18
; %bb.17:                               ;   in Loop: Header=BB10_16 Depth=1
	v_lshl_add_u64 v[6:7], v[2:3], 0, s[8:9]
	global_load_ushort v8, v[2:3], off
	global_load_ushort v9, v[6:7], off
	s_mov_b64 s[10:11], 0
	s_waitcnt vmcnt(1)
	v_lshlrev_b32_e32 v8, 16, v8
	s_waitcnt vmcnt(0)
	v_lshlrev_b32_e32 v9, 16, v9
	v_mul_f32_e32 v10, v4, v8
	v_fma_f32 v10, -v9, v5, v10
	v_mul_f32_e32 v9, v4, v9
	v_fmac_f32_e32 v9, v8, v5
	v_cvt_pk_bf16_f32 v8, v10, s0
	global_store_short v[2:3], v8, off
	v_cvt_pk_bf16_f32 v8, v9, s0
	global_store_short v[6:7], v8, off
.LBB10_18:                              ;   in Loop: Header=BB10_16 Depth=1
	s_andn2_b64 vcc, exec, s[10:11]
	s_cbranch_vccnz .LBB10_15
; %bb.19:                               ;   in Loop: Header=BB10_16 Depth=1
	v_lshl_add_u64 v[6:7], v[0:1], 0, s[4:5]
	global_load_dword v8, v[0:1], off
	global_load_dword v9, v[6:7], off
	s_waitcnt vmcnt(1)
	v_mul_f32_e32 v10, v4, v8
	s_waitcnt vmcnt(0)
	v_fma_f32 v10, -v9, v5, v10
	v_mul_f32_e32 v9, v4, v9
	v_fmac_f32_e32 v9, v8, v5
	global_store_dword v[0:1], v10, off
	global_store_dword v[6:7], v9, off
	s_branch .LBB10_15
.LBB10_20:
	s_endpgm
	.section	.rodata,"a",@progbits
	.p2align	6, 0x0
	.amdhsa_kernel _Z14rope_qk_kernelPfPviiiiiiiPKiiS2_xfffffPKxS2_S2_
		.amdhsa_group_segment_fixed_size 0
		.amdhsa_private_segment_fixed_size 0
		.amdhsa_kernarg_size 384
		.amdhsa_user_sgpr_count 2
		.amdhsa_user_sgpr_dispatch_ptr 0
		.amdhsa_user_sgpr_queue_ptr 0
		.amdhsa_user_sgpr_kernarg_segment_ptr 1
		.amdhsa_user_sgpr_dispatch_id 0
		.amdhsa_user_sgpr_kernarg_preload_length 0
		.amdhsa_user_sgpr_kernarg_preload_offset 0
		.amdhsa_user_sgpr_private_segment_size 0
		.amdhsa_uses_dynamic_stack 0
		.amdhsa_enable_private_segment 0
		.amdhsa_system_sgpr_workgroup_id_x 1
		.amdhsa_system_sgpr_workgroup_id_y 1
		.amdhsa_system_sgpr_workgroup_id_z 0
		.amdhsa_system_sgpr_workgroup_info 0
		.amdhsa_system_vgpr_workitem_id 0
		.amdhsa_next_free_vgpr 26
		.amdhsa_next_free_sgpr 52
		.amdhsa_accum_offset 28
		.amdhsa_reserve_vcc 1
		.amdhsa_float_round_mode_32 0
		.amdhsa_float_round_mode_16_64 0
		.amdhsa_float_denorm_mode_32 3
		.amdhsa_float_denorm_mode_16_64 3
		.amdhsa_dx10_clamp 1
		.amdhsa_ieee_mode 1
		.amdhsa_fp16_overflow 0
		.amdhsa_tg_split 0
		.amdhsa_exception_fp_ieee_invalid_op 0
		.amdhsa_exception_fp_denorm_src 0
		.amdhsa_exception_fp_ieee_div_zero 0
		.amdhsa_exception_fp_ieee_overflow 0
		.amdhsa_exception_fp_ieee_underflow 0
		.amdhsa_exception_fp_ieee_inexact 0
		.amdhsa_exception_int_div_zero 0
	.end_amdhsa_kernel
	.text
.Lfunc_end10:
	.size	_Z14rope_qk_kernelPfPviiiiiiiPKiiS2_xfffffPKxS2_S2_, .Lfunc_end10-_Z14rope_qk_kernelPfPviiiiiiiPKiiS2_xfffffPKxS2_S2_
                                        ; -- End function
	.set _Z14rope_qk_kernelPfPviiiiiiiPKiiS2_xfffffPKxS2_S2_.num_vgpr, 26
	.set _Z14rope_qk_kernelPfPviiiiiiiPKiiS2_xfffffPKxS2_S2_.num_agpr, 0
	.set _Z14rope_qk_kernelPfPviiiiiiiPKiiS2_xfffffPKxS2_S2_.numbered_sgpr, 52
	.set _Z14rope_qk_kernelPfPviiiiiiiPKiiS2_xfffffPKxS2_S2_.num_named_barrier, 0
	.set _Z14rope_qk_kernelPfPviiiiiiiPKiiS2_xfffffPKxS2_S2_.private_seg_size, 0
	.set _Z14rope_qk_kernelPfPviiiiiiiPKiiS2_xfffffPKxS2_S2_.uses_vcc, 1
	.set _Z14rope_qk_kernelPfPviiiiiiiPKiiS2_xfffffPKxS2_S2_.uses_flat_scratch, 0
	.set _Z14rope_qk_kernelPfPviiiiiiiPKiiS2_xfffffPKxS2_S2_.has_dyn_sized_stack, 0
	.set _Z14rope_qk_kernelPfPviiiiiiiPKiiS2_xfffffPKxS2_S2_.has_recursion, 0
	.set _Z14rope_qk_kernelPfPviiiiiiiPKiiS2_xfffffPKxS2_S2_.has_indirect_call, 0
	.section	.AMDGPU.csdata,"",@progbits
; Kernel info:
; codeLenInByte = 5040
; TotalNumSgprs: 58
; NumVgprs: 26
; NumAgprs: 0
; TotalNumVgprs: 26
; ScratchSize: 0
; MemoryBound: 0
; FloatMode: 240
; IeeeMode: 1
; LDSByteSize: 0 bytes/workgroup (compile time only)
; SGPRBlocks: 7
; VGPRBlocks: 3
; NumSGPRsForWavesPerEU: 58
; NumVGPRsForWavesPerEU: 26
; AccumOffset: 28
; Occupancy: 8
; WaveLimiterHint : 0
; COMPUTE_PGM_RSRC2:SCRATCH_EN: 0
; COMPUTE_PGM_RSRC2:USER_SGPR: 2
; COMPUTE_PGM_RSRC2:TRAP_HANDLER: 0
; COMPUTE_PGM_RSRC2:TGID_X_EN: 1
; COMPUTE_PGM_RSRC2:TGID_Y_EN: 1
; COMPUTE_PGM_RSRC2:TGID_Z_EN: 0
; COMPUTE_PGM_RSRC2:TIDIG_COMP_CNT: 0
; COMPUTE_PGM_RSRC3_GFX90A:ACCUM_OFFSET: 6
; COMPUTE_PGM_RSRC3_GFX90A:TG_SPLIT: 0
	.text
	.protected	_Z23count_tokens_per_expertPKiPKfiiPiS3_PfS3_i ; -- Begin function _Z23count_tokens_per_expertPKiPKfiiPiS3_PfS3_i
	.globl	_Z23count_tokens_per_expertPKiPKfiiPiS3_PfS3_i
	.p2align	8
	.type	_Z23count_tokens_per_expertPKiPKfiiPiS3_PfS3_i,@function
_Z23count_tokens_per_expertPKiPKfiiPiS3_PfS3_i: ; @_Z23count_tokens_per_expertPKiPKfiiPiS3_PfS3_i
; %bb.0:
	s_load_dword s3, s[0:1], 0x4c
	s_load_dwordx2 s[8:9], s[0:1], 0x10
	s_waitcnt lgkmcnt(0)
	s_and_b32 s3, s3, 0xffff
	s_mul_i32 s2, s2, s3
	v_add_u32_e32 v0, s2, v0
	s_mul_i32 s2, s9, s8
	v_cmp_gt_i32_e32 vcc, s2, v0
	s_and_saveexec_b64 s[2:3], vcc
	s_cbranch_execz .LBB11_3
; %bb.1:
	s_load_dwordx4 s[12:15], s[0:1], 0x0
	s_load_dwordx4 s[4:7], s[0:1], 0x18
	v_ashrrev_i32_e32 v1, 31, v0
	v_lshlrev_b64 v[4:5], 2, v[0:1]
	s_abs_i32 s8, s9
	s_waitcnt lgkmcnt(0)
	v_lshl_add_u64 v[6:7], s[12:13], 0, v[4:5]
	v_lshl_add_u64 v[8:9], s[14:15], 0, v[4:5]
	global_load_dword v2, v[6:7], off
	global_load_dword v3, v[8:9], off
	v_cvt_f32_u32_e32 v1, s8
	v_sub_u32_e32 v7, 0, v0
	v_xor_b32_e32 v6, s9, v0
	v_max_i32_e32 v9, v0, v7
	v_rcp_iflag_f32_e32 v1, v1
	s_sub_i32 s9, 0, s8
	s_load_dwordx2 s[2:3], s[0:1], 0x28
	s_load_dword s10, s[0:1], 0x38
	v_ashrrev_i32_e32 v8, 31, v6
	v_mul_f32_e32 v0, 0x4f7ffffe, v1
	v_cvt_u32_f32_e32 v10, v0
	v_lshl_add_u64 v[6:7], s[6:7], 0, v[4:5]
	v_lshl_add_u64 v[0:1], s[4:5], 0, v[4:5]
	s_waitcnt lgkmcnt(0)
	v_lshl_add_u64 v[4:5], s[2:3], 0, v[4:5]
	v_mul_lo_u32 v11, s9, v10
	v_mul_hi_u32 v11, v10, v11
	v_add_u32_e32 v10, v10, v11
	v_mul_hi_u32 v10, v9, v10
	v_mul_lo_u32 v11, v10, s8
	v_sub_u32_e32 v9, v9, v11
	v_add_u32_e32 v12, 1, v10
	v_cmp_le_u32_e32 vcc, s8, v9
	v_subrev_u32_e32 v11, s8, v9
	s_nop 0
	v_cndmask_b32_e32 v10, v10, v12, vcc
	v_cndmask_b32_e32 v9, v9, v11, vcc
	v_add_u32_e32 v11, 1, v10
	v_cmp_le_u32_e32 vcc, s8, v9
	s_nop 1
	v_cndmask_b32_e32 v9, v10, v11, vcc
	v_xor_b32_e32 v9, v9, v8
	v_sub_u32_e32 v8, v9, v8
	global_store_dword v[6:7], v8, off
	s_waitcnt vmcnt(2)
	global_store_dword v[0:1], v2, off
	s_waitcnt vmcnt(2)
	global_store_dword v[4:5], v3, off
	v_cmp_gt_u32_e32 vcc, s10, v2
	s_and_b64 exec, exec, vcc
	s_cbranch_execz .LBB11_3
; %bb.2:
	s_load_dwordx2 s[0:1], s[0:1], 0x30
	v_ashrrev_i32_e32 v3, 31, v2
	s_waitcnt lgkmcnt(0)
	v_lshl_add_u64 v[0:1], v[2:3], 2, s[0:1]
	v_mov_b32_e32 v2, 1
	global_atomic_add v[0:1], v2, off
.LBB11_3:
	s_endpgm
	.section	.rodata,"a",@progbits
	.p2align	6, 0x0
	.amdhsa_kernel _Z23count_tokens_per_expertPKiPKfiiPiS3_PfS3_i
		.amdhsa_group_segment_fixed_size 0
		.amdhsa_private_segment_fixed_size 0
		.amdhsa_kernarg_size 320
		.amdhsa_user_sgpr_count 2
		.amdhsa_user_sgpr_dispatch_ptr 0
		.amdhsa_user_sgpr_queue_ptr 0
		.amdhsa_user_sgpr_kernarg_segment_ptr 1
		.amdhsa_user_sgpr_dispatch_id 0
		.amdhsa_user_sgpr_kernarg_preload_length 0
		.amdhsa_user_sgpr_kernarg_preload_offset 0
		.amdhsa_user_sgpr_private_segment_size 0
		.amdhsa_uses_dynamic_stack 0
		.amdhsa_enable_private_segment 0
		.amdhsa_system_sgpr_workgroup_id_x 1
		.amdhsa_system_sgpr_workgroup_id_y 0
		.amdhsa_system_sgpr_workgroup_id_z 0
		.amdhsa_system_sgpr_workgroup_info 0
		.amdhsa_system_vgpr_workitem_id 0
		.amdhsa_next_free_vgpr 13
		.amdhsa_next_free_sgpr 16
		.amdhsa_accum_offset 16
		.amdhsa_reserve_vcc 1
		.amdhsa_float_round_mode_32 0
		.amdhsa_float_round_mode_16_64 0
		.amdhsa_float_denorm_mode_32 3
		.amdhsa_float_denorm_mode_16_64 3
		.amdhsa_dx10_clamp 1
		.amdhsa_ieee_mode 1
		.amdhsa_fp16_overflow 0
		.amdhsa_tg_split 0
		.amdhsa_exception_fp_ieee_invalid_op 0
		.amdhsa_exception_fp_denorm_src 0
		.amdhsa_exception_fp_ieee_div_zero 0
		.amdhsa_exception_fp_ieee_overflow 0
		.amdhsa_exception_fp_ieee_underflow 0
		.amdhsa_exception_fp_ieee_inexact 0
		.amdhsa_exception_int_div_zero 0
	.end_amdhsa_kernel
	.text
.Lfunc_end11:
	.size	_Z23count_tokens_per_expertPKiPKfiiPiS3_PfS3_i, .Lfunc_end11-_Z23count_tokens_per_expertPKiPKfiiPiS3_PfS3_i
                                        ; -- End function
	.set _Z23count_tokens_per_expertPKiPKfiiPiS3_PfS3_i.num_vgpr, 13
	.set _Z23count_tokens_per_expertPKiPKfiiPiS3_PfS3_i.num_agpr, 0
	.set _Z23count_tokens_per_expertPKiPKfiiPiS3_PfS3_i.numbered_sgpr, 16
	.set _Z23count_tokens_per_expertPKiPKfiiPiS3_PfS3_i.num_named_barrier, 0
	.set _Z23count_tokens_per_expertPKiPKfiiPiS3_PfS3_i.private_seg_size, 0
	.set _Z23count_tokens_per_expertPKiPKfiiPiS3_PfS3_i.uses_vcc, 1
	.set _Z23count_tokens_per_expertPKiPKfiiPiS3_PfS3_i.uses_flat_scratch, 0
	.set _Z23count_tokens_per_expertPKiPKfiiPiS3_PfS3_i.has_dyn_sized_stack, 0
	.set _Z23count_tokens_per_expertPKiPKfiiPiS3_PfS3_i.has_recursion, 0
	.set _Z23count_tokens_per_expertPKiPKfiiPiS3_PfS3_i.has_indirect_call, 0
	.section	.AMDGPU.csdata,"",@progbits
; Kernel info:
; codeLenInByte = 376
; TotalNumSgprs: 22
; NumVgprs: 13
; NumAgprs: 0
; TotalNumVgprs: 13
; ScratchSize: 0
; MemoryBound: 0
; FloatMode: 240
; IeeeMode: 1
; LDSByteSize: 0 bytes/workgroup (compile time only)
; SGPRBlocks: 2
; VGPRBlocks: 1
; NumSGPRsForWavesPerEU: 22
; NumVGPRsForWavesPerEU: 13
; AccumOffset: 16
; Occupancy: 8
; WaveLimiterHint : 1
; COMPUTE_PGM_RSRC2:SCRATCH_EN: 0
; COMPUTE_PGM_RSRC2:USER_SGPR: 2
; COMPUTE_PGM_RSRC2:TRAP_HANDLER: 0
; COMPUTE_PGM_RSRC2:TGID_X_EN: 1
; COMPUTE_PGM_RSRC2:TGID_Y_EN: 0
; COMPUTE_PGM_RSRC2:TGID_Z_EN: 0
; COMPUTE_PGM_RSRC2:TIDIG_COMP_CNT: 0
; COMPUTE_PGM_RSRC3_GFX90A:ACCUM_OFFSET: 3
; COMPUTE_PGM_RSRC3_GFX90A:TG_SPLIT: 0
	.text
	.protected	_Z29exclusive_scan_expert_offsetsPiS_i ; -- Begin function _Z29exclusive_scan_expert_offsetsPiS_i
	.globl	_Z29exclusive_scan_expert_offsetsPiS_i
	.p2align	8
	.type	_Z29exclusive_scan_expert_offsetsPiS_i,@function
_Z29exclusive_scan_expert_offsetsPiS_i: ; @_Z29exclusive_scan_expert_offsetsPiS_i
; %bb.0:
	v_cmp_eq_u32_e32 vcc, 0, v0
	s_and_saveexec_b64 s[2:3], vcc
	s_cbranch_execz .LBB12_8
; %bb.1:
	s_load_dword s9, s[0:1], 0x10
	s_load_dwordx2 s[4:5], s[0:1], 0x8
	v_mov_b32_e32 v3, 0
	s_waitcnt lgkmcnt(0)
	s_cmp_lt_i32 s9, 1
	global_store_dword v3, v3, s[4:5]
	s_cbranch_scc1 .LBB12_8
; %bb.2:
	s_load_dwordx2 s[6:7], s[0:1], 0x0
	s_cmp_lt_u32 s9, 8
	s_mov_b32 s8, 0
	s_cbranch_scc1 .LBB12_5
; %bb.3:
	s_mov_b32 s0, 0
	s_mov_b32 s2, s0
	;; [unrolled: 1-line block ×4, first 2 shown]
	v_mov_b64_e32 v[8:9], s[2:3]
	s_and_b32 s8, s9, 0x7ffffff8
	s_mov_b64 s[10:11], 0
	v_mov_b32_e32 v4, 0
	v_mov_b64_e32 v[6:7], s[0:1]
	v_mov_b32_e32 v3, 0
.LBB12_4:                               ; =>This Inner Loop Header: Depth=1
	s_waitcnt lgkmcnt(0)
	s_add_u32 s2, s6, s10
	s_addc_u32 s3, s7, s11
	global_load_dwordx4 v[10:13], v4, s[2:3]
	global_load_dwordx4 v[14:17], v4, s[2:3] offset:16
	s_add_u32 s12, s4, s10
	s_addc_u32 s13, s5, s11
	global_store_dwordx4 v4, v[6:9], s[2:3]
	global_store_dwordx4 v4, v[6:9], s[2:3] offset:16
	s_add_i32 s0, s0, 8
	s_add_u32 s10, s10, 32
	s_addc_u32 s11, s11, 0
	s_cmp_lg_u32 s8, s0
	s_waitcnt vmcnt(3)
	v_add_u32_e32 v0, v10, v3
	v_add_u32_e32 v1, v11, v0
	;; [unrolled: 1-line block ×4, first 2 shown]
	global_store_dwordx4 v4, v[0:3], s[12:13] offset:4
	s_waitcnt vmcnt(3)
	s_nop 0
	v_add_u32_e32 v0, v14, v3
	v_add_u32_e32 v1, v15, v0
	;; [unrolled: 1-line block ×4, first 2 shown]
	global_store_dwordx4 v4, v[0:3], s[12:13] offset:20
	s_cbranch_scc1 .LBB12_4
.LBB12_5:
	s_and_b32 s10, s9, 7
	s_cmp_eq_u32 s10, 0
	s_mov_b32 s9, 0
	s_cbranch_scc1 .LBB12_8
; %bb.6:
	s_lshl_b64 s[2:3], s[8:9], 2
	s_add_u32 s0, s4, s2
	s_addc_u32 s1, s5, s3
	s_add_u32 s0, s0, 4
	s_addc_u32 s1, s1, 0
	s_waitcnt lgkmcnt(0)
	s_add_u32 s2, s6, s2
	s_addc_u32 s3, s7, s3
	v_mov_b32_e32 v0, 0
.LBB12_7:                               ; =>This Inner Loop Header: Depth=1
	global_load_dword v1, v0, s[2:3]
	s_waitcnt vmcnt(0)
	v_add_u32_e32 v3, v1, v3
	global_store_dword v0, v3, s[0:1]
	s_add_u32 s0, s0, 4
	s_addc_u32 s1, s1, 0
	global_store_dword v0, v0, s[2:3]
	s_add_u32 s2, s2, 4
	s_addc_u32 s3, s3, 0
	s_add_i32 s10, s10, -1
	s_cmp_lg_u32 s10, 0
	s_cbranch_scc1 .LBB12_7
.LBB12_8:
	s_endpgm
	.section	.rodata,"a",@progbits
	.p2align	6, 0x0
	.amdhsa_kernel _Z29exclusive_scan_expert_offsetsPiS_i
		.amdhsa_group_segment_fixed_size 0
		.amdhsa_private_segment_fixed_size 0
		.amdhsa_kernarg_size 20
		.amdhsa_user_sgpr_count 2
		.amdhsa_user_sgpr_dispatch_ptr 0
		.amdhsa_user_sgpr_queue_ptr 0
		.amdhsa_user_sgpr_kernarg_segment_ptr 1
		.amdhsa_user_sgpr_dispatch_id 0
		.amdhsa_user_sgpr_kernarg_preload_length 0
		.amdhsa_user_sgpr_kernarg_preload_offset 0
		.amdhsa_user_sgpr_private_segment_size 0
		.amdhsa_uses_dynamic_stack 0
		.amdhsa_enable_private_segment 0
		.amdhsa_system_sgpr_workgroup_id_x 1
		.amdhsa_system_sgpr_workgroup_id_y 0
		.amdhsa_system_sgpr_workgroup_id_z 0
		.amdhsa_system_sgpr_workgroup_info 0
		.amdhsa_system_vgpr_workitem_id 0
		.amdhsa_next_free_vgpr 18
		.amdhsa_next_free_sgpr 14
		.amdhsa_accum_offset 20
		.amdhsa_reserve_vcc 1
		.amdhsa_float_round_mode_32 0
		.amdhsa_float_round_mode_16_64 0
		.amdhsa_float_denorm_mode_32 3
		.amdhsa_float_denorm_mode_16_64 3
		.amdhsa_dx10_clamp 1
		.amdhsa_ieee_mode 1
		.amdhsa_fp16_overflow 0
		.amdhsa_tg_split 0
		.amdhsa_exception_fp_ieee_invalid_op 0
		.amdhsa_exception_fp_denorm_src 0
		.amdhsa_exception_fp_ieee_div_zero 0
		.amdhsa_exception_fp_ieee_overflow 0
		.amdhsa_exception_fp_ieee_underflow 0
		.amdhsa_exception_fp_ieee_inexact 0
		.amdhsa_exception_int_div_zero 0
	.end_amdhsa_kernel
	.text
.Lfunc_end12:
	.size	_Z29exclusive_scan_expert_offsetsPiS_i, .Lfunc_end12-_Z29exclusive_scan_expert_offsetsPiS_i
                                        ; -- End function
	.set _Z29exclusive_scan_expert_offsetsPiS_i.num_vgpr, 18
	.set _Z29exclusive_scan_expert_offsetsPiS_i.num_agpr, 0
	.set _Z29exclusive_scan_expert_offsetsPiS_i.numbered_sgpr, 14
	.set _Z29exclusive_scan_expert_offsetsPiS_i.num_named_barrier, 0
	.set _Z29exclusive_scan_expert_offsetsPiS_i.private_seg_size, 0
	.set _Z29exclusive_scan_expert_offsetsPiS_i.uses_vcc, 1
	.set _Z29exclusive_scan_expert_offsetsPiS_i.uses_flat_scratch, 0
	.set _Z29exclusive_scan_expert_offsetsPiS_i.has_dyn_sized_stack, 0
	.set _Z29exclusive_scan_expert_offsetsPiS_i.has_recursion, 0
	.set _Z29exclusive_scan_expert_offsetsPiS_i.has_indirect_call, 0
	.section	.AMDGPU.csdata,"",@progbits
; Kernel info:
; codeLenInByte = 364
; TotalNumSgprs: 20
; NumVgprs: 18
; NumAgprs: 0
; TotalNumVgprs: 18
; ScratchSize: 0
; MemoryBound: 0
; FloatMode: 240
; IeeeMode: 1
; LDSByteSize: 0 bytes/workgroup (compile time only)
; SGPRBlocks: 2
; VGPRBlocks: 2
; NumSGPRsForWavesPerEU: 20
; NumVGPRsForWavesPerEU: 18
; AccumOffset: 20
; Occupancy: 8
; WaveLimiterHint : 0
; COMPUTE_PGM_RSRC2:SCRATCH_EN: 0
; COMPUTE_PGM_RSRC2:USER_SGPR: 2
; COMPUTE_PGM_RSRC2:TRAP_HANDLER: 0
; COMPUTE_PGM_RSRC2:TGID_X_EN: 1
; COMPUTE_PGM_RSRC2:TGID_Y_EN: 0
; COMPUTE_PGM_RSRC2:TGID_Z_EN: 0
; COMPUTE_PGM_RSRC2:TIDIG_COMP_CNT: 0
; COMPUTE_PGM_RSRC3_GFX90A:ACCUM_OFFSET: 4
; COMPUTE_PGM_RSRC3_GFX90A:TG_SPLIT: 0
	.text
	.protected	_Z24compact_by_expert_kernelPKiS0_PKfiS0_PiS3_Pf ; -- Begin function _Z24compact_by_expert_kernelPKiS0_PKfiS0_PiS3_Pf
	.globl	_Z24compact_by_expert_kernelPKiS0_PKfiS0_PiS3_Pf
	.p2align	8
	.type	_Z24compact_by_expert_kernelPKiS0_PKfiS0_PiS3_Pf,@function
_Z24compact_by_expert_kernelPKiS0_PKfiS0_PiS3_Pf: ; @_Z24compact_by_expert_kernelPKiS0_PKfiS0_PiS3_Pf
; %bb.0:
	s_load_dword s3, s[0:1], 0x4c
	s_load_dword s4, s[0:1], 0x18
	s_waitcnt lgkmcnt(0)
	s_and_b32 s3, s3, 0xffff
	s_mul_i32 s2, s2, s3
	v_add_u32_e32 v0, s2, v0
	v_cmp_gt_i32_e32 vcc, s4, v0
	s_and_saveexec_b64 s[2:3], vcc
	s_cbranch_execz .LBB13_2
; %bb.1:
	s_load_dwordx4 s[12:15], s[0:1], 0x0
	s_load_dwordx2 s[2:3], s[0:1], 0x10
	v_ashrrev_i32_e32 v1, 31, v0
	v_lshlrev_b64 v[0:1], 2, v[0:1]
	s_load_dwordx8 s[4:11], s[0:1], 0x20
	s_waitcnt lgkmcnt(0)
	v_lshl_add_u64 v[2:3], s[12:13], 0, v[0:1]
	global_load_dword v2, v[2:3], off
	v_mov_b32_e32 v6, 1
	s_waitcnt vmcnt(0)
	v_ashrrev_i32_e32 v3, 31, v2
	v_lshlrev_b64 v[2:3], 2, v[2:3]
	v_lshl_add_u64 v[4:5], s[6:7], 0, v[2:3]
	v_lshl_add_u64 v[2:3], s[4:5], 0, v[2:3]
	global_atomic_add v4, v[4:5], v6, off sc0
	s_nop 0
	global_load_dword v5, v[2:3], off
	v_lshl_add_u64 v[2:3], s[14:15], 0, v[0:1]
	v_lshl_add_u64 v[0:1], s[2:3], 0, v[0:1]
	global_load_dword v6, v[2:3], off
	global_load_dword v7, v[0:1], off
	s_waitcnt vmcnt(2)
	v_add_u32_e32 v0, v5, v4
	v_ashrrev_i32_e32 v1, 31, v0
	v_lshlrev_b64 v[0:1], 2, v[0:1]
	v_lshl_add_u64 v[2:3], s[8:9], 0, v[0:1]
	v_lshl_add_u64 v[0:1], s[10:11], 0, v[0:1]
	s_waitcnt vmcnt(1)
	global_store_dword v[2:3], v6, off
	s_waitcnt vmcnt(1)
	global_store_dword v[0:1], v7, off
.LBB13_2:
	s_endpgm
	.section	.rodata,"a",@progbits
	.p2align	6, 0x0
	.amdhsa_kernel _Z24compact_by_expert_kernelPKiS0_PKfiS0_PiS3_Pf
		.amdhsa_group_segment_fixed_size 0
		.amdhsa_private_segment_fixed_size 0
		.amdhsa_kernarg_size 320
		.amdhsa_user_sgpr_count 2
		.amdhsa_user_sgpr_dispatch_ptr 0
		.amdhsa_user_sgpr_queue_ptr 0
		.amdhsa_user_sgpr_kernarg_segment_ptr 1
		.amdhsa_user_sgpr_dispatch_id 0
		.amdhsa_user_sgpr_kernarg_preload_length 0
		.amdhsa_user_sgpr_kernarg_preload_offset 0
		.amdhsa_user_sgpr_private_segment_size 0
		.amdhsa_uses_dynamic_stack 0
		.amdhsa_enable_private_segment 0
		.amdhsa_system_sgpr_workgroup_id_x 1
		.amdhsa_system_sgpr_workgroup_id_y 0
		.amdhsa_system_sgpr_workgroup_id_z 0
		.amdhsa_system_sgpr_workgroup_info 0
		.amdhsa_system_vgpr_workitem_id 0
		.amdhsa_next_free_vgpr 8
		.amdhsa_next_free_sgpr 16
		.amdhsa_accum_offset 8
		.amdhsa_reserve_vcc 1
		.amdhsa_float_round_mode_32 0
		.amdhsa_float_round_mode_16_64 0
		.amdhsa_float_denorm_mode_32 3
		.amdhsa_float_denorm_mode_16_64 3
		.amdhsa_dx10_clamp 1
		.amdhsa_ieee_mode 1
		.amdhsa_fp16_overflow 0
		.amdhsa_tg_split 0
		.amdhsa_exception_fp_ieee_invalid_op 0
		.amdhsa_exception_fp_denorm_src 0
		.amdhsa_exception_fp_ieee_div_zero 0
		.amdhsa_exception_fp_ieee_overflow 0
		.amdhsa_exception_fp_ieee_underflow 0
		.amdhsa_exception_fp_ieee_inexact 0
		.amdhsa_exception_int_div_zero 0
	.end_amdhsa_kernel
	.text
.Lfunc_end13:
	.size	_Z24compact_by_expert_kernelPKiS0_PKfiS0_PiS3_Pf, .Lfunc_end13-_Z24compact_by_expert_kernelPKiS0_PKfiS0_PiS3_Pf
                                        ; -- End function
	.set _Z24compact_by_expert_kernelPKiS0_PKfiS0_PiS3_Pf.num_vgpr, 8
	.set _Z24compact_by_expert_kernelPKiS0_PKfiS0_PiS3_Pf.num_agpr, 0
	.set _Z24compact_by_expert_kernelPKiS0_PKfiS0_PiS3_Pf.numbered_sgpr, 16
	.set _Z24compact_by_expert_kernelPKiS0_PKfiS0_PiS3_Pf.num_named_barrier, 0
	.set _Z24compact_by_expert_kernelPKiS0_PKfiS0_PiS3_Pf.private_seg_size, 0
	.set _Z24compact_by_expert_kernelPKiS0_PKfiS0_PiS3_Pf.uses_vcc, 1
	.set _Z24compact_by_expert_kernelPKiS0_PKfiS0_PiS3_Pf.uses_flat_scratch, 0
	.set _Z24compact_by_expert_kernelPKiS0_PKfiS0_PiS3_Pf.has_dyn_sized_stack, 0
	.set _Z24compact_by_expert_kernelPKiS0_PKfiS0_PiS3_Pf.has_recursion, 0
	.set _Z24compact_by_expert_kernelPKiS0_PKfiS0_PiS3_Pf.has_indirect_call, 0
	.section	.AMDGPU.csdata,"",@progbits
; Kernel info:
; codeLenInByte = 256
; TotalNumSgprs: 22
; NumVgprs: 8
; NumAgprs: 0
; TotalNumVgprs: 8
; ScratchSize: 0
; MemoryBound: 0
; FloatMode: 240
; IeeeMode: 1
; LDSByteSize: 0 bytes/workgroup (compile time only)
; SGPRBlocks: 2
; VGPRBlocks: 0
; NumSGPRsForWavesPerEU: 22
; NumVGPRsForWavesPerEU: 8
; AccumOffset: 8
; Occupancy: 8
; WaveLimiterHint : 1
; COMPUTE_PGM_RSRC2:SCRATCH_EN: 0
; COMPUTE_PGM_RSRC2:USER_SGPR: 2
; COMPUTE_PGM_RSRC2:TRAP_HANDLER: 0
; COMPUTE_PGM_RSRC2:TGID_X_EN: 1
; COMPUTE_PGM_RSRC2:TGID_Y_EN: 0
; COMPUTE_PGM_RSRC2:TGID_Z_EN: 0
; COMPUTE_PGM_RSRC2:TIDIG_COMP_CNT: 0
; COMPUTE_PGM_RSRC3_GFX90A:ACCUM_OFFSET: 1
; COMPUTE_PGM_RSRC3_GFX90A:TG_SPLIT: 0
	.text
	.protected	_Z23gather_rows_vec4_kernelPKfPKiPfii ; -- Begin function _Z23gather_rows_vec4_kernelPKfPKiPfii
	.globl	_Z23gather_rows_vec4_kernelPKfPKiPfii
	.p2align	8
	.type	_Z23gather_rows_vec4_kernelPKfPKiPfii,@function
_Z23gather_rows_vec4_kernelPKfPKiPfii:  ; @_Z23gather_rows_vec4_kernelPKfPKiPfii
; %bb.0:
	s_mov_b32 s4, s3
	s_load_dword s3, s[0:1], 0x2c
	s_load_dwordx2 s[6:7], s[0:1], 0x18
	s_waitcnt lgkmcnt(0)
	s_and_b32 s3, s3, 0xffff
	s_mul_i32 s2, s2, s3
	v_add_u32_e32 v0, s2, v0
	s_cmp_lt_i32 s4, s6
	s_cselect_b64 s[2:3], -1, 0
	v_cmp_gt_i32_e32 vcc, s7, v0
	s_and_b64 s[2:3], s[2:3], vcc
	s_and_saveexec_b64 s[8:9], s[2:3]
	s_cbranch_execz .LBB14_2
; %bb.1:
	s_load_dwordx4 s[8:11], s[0:1], 0x0
	s_load_dwordx2 s[2:3], s[0:1], 0x10
	s_ashr_i32 s5, s4, 31
	s_lshl_b64 s[0:1], s[4:5], 2
	s_waitcnt lgkmcnt(0)
	s_add_u32 s0, s10, s0
	s_addc_u32 s1, s11, s1
	s_load_dword s0, s[0:1], 0x0
	s_waitcnt lgkmcnt(0)
	s_mul_i32 s0, s0, s7
	v_add_u32_e32 v2, s0, v0
	v_ashrrev_i32_e32 v3, 31, v2
	v_lshl_add_u64 v[2:3], v[2:3], 4, s[8:9]
	global_load_dwordx4 v[2:5], v[2:3], off
	s_mul_i32 s0, s7, s4
	v_add_u32_e32 v0, s0, v0
	v_ashrrev_i32_e32 v1, 31, v0
	v_lshl_add_u64 v[0:1], v[0:1], 4, s[2:3]
	s_waitcnt vmcnt(0)
	global_store_dwordx4 v[0:1], v[2:5], off
.LBB14_2:
	s_endpgm
	.section	.rodata,"a",@progbits
	.p2align	6, 0x0
	.amdhsa_kernel _Z23gather_rows_vec4_kernelPKfPKiPfii
		.amdhsa_group_segment_fixed_size 0
		.amdhsa_private_segment_fixed_size 0
		.amdhsa_kernarg_size 288
		.amdhsa_user_sgpr_count 2
		.amdhsa_user_sgpr_dispatch_ptr 0
		.amdhsa_user_sgpr_queue_ptr 0
		.amdhsa_user_sgpr_kernarg_segment_ptr 1
		.amdhsa_user_sgpr_dispatch_id 0
		.amdhsa_user_sgpr_kernarg_preload_length 0
		.amdhsa_user_sgpr_kernarg_preload_offset 0
		.amdhsa_user_sgpr_private_segment_size 0
		.amdhsa_uses_dynamic_stack 0
		.amdhsa_enable_private_segment 0
		.amdhsa_system_sgpr_workgroup_id_x 1
		.amdhsa_system_sgpr_workgroup_id_y 1
		.amdhsa_system_sgpr_workgroup_id_z 0
		.amdhsa_system_sgpr_workgroup_info 0
		.amdhsa_system_vgpr_workitem_id 0
		.amdhsa_next_free_vgpr 6
		.amdhsa_next_free_sgpr 12
		.amdhsa_accum_offset 8
		.amdhsa_reserve_vcc 1
		.amdhsa_float_round_mode_32 0
		.amdhsa_float_round_mode_16_64 0
		.amdhsa_float_denorm_mode_32 3
		.amdhsa_float_denorm_mode_16_64 3
		.amdhsa_dx10_clamp 1
		.amdhsa_ieee_mode 1
		.amdhsa_fp16_overflow 0
		.amdhsa_tg_split 0
		.amdhsa_exception_fp_ieee_invalid_op 0
		.amdhsa_exception_fp_denorm_src 0
		.amdhsa_exception_fp_ieee_div_zero 0
		.amdhsa_exception_fp_ieee_overflow 0
		.amdhsa_exception_fp_ieee_underflow 0
		.amdhsa_exception_fp_ieee_inexact 0
		.amdhsa_exception_int_div_zero 0
	.end_amdhsa_kernel
	.text
.Lfunc_end14:
	.size	_Z23gather_rows_vec4_kernelPKfPKiPfii, .Lfunc_end14-_Z23gather_rows_vec4_kernelPKfPKiPfii
                                        ; -- End function
	.set _Z23gather_rows_vec4_kernelPKfPKiPfii.num_vgpr, 6
	.set _Z23gather_rows_vec4_kernelPKfPKiPfii.num_agpr, 0
	.set _Z23gather_rows_vec4_kernelPKfPKiPfii.numbered_sgpr, 12
	.set _Z23gather_rows_vec4_kernelPKfPKiPfii.num_named_barrier, 0
	.set _Z23gather_rows_vec4_kernelPKfPKiPfii.private_seg_size, 0
	.set _Z23gather_rows_vec4_kernelPKfPKiPfii.uses_vcc, 1
	.set _Z23gather_rows_vec4_kernelPKfPKiPfii.uses_flat_scratch, 0
	.set _Z23gather_rows_vec4_kernelPKfPKiPfii.has_dyn_sized_stack, 0
	.set _Z23gather_rows_vec4_kernelPKfPKiPfii.has_recursion, 0
	.set _Z23gather_rows_vec4_kernelPKfPKiPfii.has_indirect_call, 0
	.section	.AMDGPU.csdata,"",@progbits
; Kernel info:
; codeLenInByte = 176
; TotalNumSgprs: 18
; NumVgprs: 6
; NumAgprs: 0
; TotalNumVgprs: 6
; ScratchSize: 0
; MemoryBound: 0
; FloatMode: 240
; IeeeMode: 1
; LDSByteSize: 0 bytes/workgroup (compile time only)
; SGPRBlocks: 2
; VGPRBlocks: 0
; NumSGPRsForWavesPerEU: 18
; NumVGPRsForWavesPerEU: 6
; AccumOffset: 8
; Occupancy: 8
; WaveLimiterHint : 0
; COMPUTE_PGM_RSRC2:SCRATCH_EN: 0
; COMPUTE_PGM_RSRC2:USER_SGPR: 2
; COMPUTE_PGM_RSRC2:TRAP_HANDLER: 0
; COMPUTE_PGM_RSRC2:TGID_X_EN: 1
; COMPUTE_PGM_RSRC2:TGID_Y_EN: 1
; COMPUTE_PGM_RSRC2:TGID_Z_EN: 0
; COMPUTE_PGM_RSRC2:TIDIG_COMP_CNT: 0
; COMPUTE_PGM_RSRC3_GFX90A:ACCUM_OFFSET: 1
; COMPUTE_PGM_RSRC3_GFX90A:TG_SPLIT: 0
	.text
	.protected	_Z18gather_rows_kernelPKfPKiPfii ; -- Begin function _Z18gather_rows_kernelPKfPKiPfii
	.globl	_Z18gather_rows_kernelPKfPKiPfii
	.p2align	8
	.type	_Z18gather_rows_kernelPKfPKiPfii,@function
_Z18gather_rows_kernelPKfPKiPfii:       ; @_Z18gather_rows_kernelPKfPKiPfii
; %bb.0:
	s_mov_b32 s4, s3
	s_load_dword s3, s[0:1], 0x2c
	s_load_dwordx2 s[6:7], s[0:1], 0x18
	s_waitcnt lgkmcnt(0)
	s_and_b32 s3, s3, 0xffff
	s_mul_i32 s2, s2, s3
	v_add_u32_e32 v0, s2, v0
	s_cmp_lt_i32 s4, s6
	s_cselect_b64 s[2:3], -1, 0
	v_cmp_gt_i32_e32 vcc, s7, v0
	s_and_b64 s[2:3], s[2:3], vcc
	s_and_saveexec_b64 s[8:9], s[2:3]
	s_cbranch_execz .LBB15_2
; %bb.1:
	s_load_dwordx4 s[8:11], s[0:1], 0x0
	s_load_dwordx2 s[2:3], s[0:1], 0x10
	s_ashr_i32 s5, s4, 31
	s_lshl_b64 s[0:1], s[4:5], 2
	s_waitcnt lgkmcnt(0)
	s_add_u32 s0, s10, s0
	s_addc_u32 s1, s11, s1
	s_load_dword s0, s[0:1], 0x0
	s_waitcnt lgkmcnt(0)
	s_mul_i32 s0, s0, s7
	v_add_u32_e32 v2, s0, v0
	v_ashrrev_i32_e32 v3, 31, v2
	v_lshl_add_u64 v[2:3], v[2:3], 2, s[8:9]
	global_load_dword v2, v[2:3], off
	s_mul_i32 s0, s7, s4
	v_add_u32_e32 v0, s0, v0
	v_ashrrev_i32_e32 v1, 31, v0
	v_lshl_add_u64 v[0:1], v[0:1], 2, s[2:3]
	s_waitcnt vmcnt(0)
	global_store_dword v[0:1], v2, off
.LBB15_2:
	s_endpgm
	.section	.rodata,"a",@progbits
	.p2align	6, 0x0
	.amdhsa_kernel _Z18gather_rows_kernelPKfPKiPfii
		.amdhsa_group_segment_fixed_size 0
		.amdhsa_private_segment_fixed_size 0
		.amdhsa_kernarg_size 288
		.amdhsa_user_sgpr_count 2
		.amdhsa_user_sgpr_dispatch_ptr 0
		.amdhsa_user_sgpr_queue_ptr 0
		.amdhsa_user_sgpr_kernarg_segment_ptr 1
		.amdhsa_user_sgpr_dispatch_id 0
		.amdhsa_user_sgpr_kernarg_preload_length 0
		.amdhsa_user_sgpr_kernarg_preload_offset 0
		.amdhsa_user_sgpr_private_segment_size 0
		.amdhsa_uses_dynamic_stack 0
		.amdhsa_enable_private_segment 0
		.amdhsa_system_sgpr_workgroup_id_x 1
		.amdhsa_system_sgpr_workgroup_id_y 1
		.amdhsa_system_sgpr_workgroup_id_z 0
		.amdhsa_system_sgpr_workgroup_info 0
		.amdhsa_system_vgpr_workitem_id 0
		.amdhsa_next_free_vgpr 4
		.amdhsa_next_free_sgpr 12
		.amdhsa_accum_offset 4
		.amdhsa_reserve_vcc 1
		.amdhsa_float_round_mode_32 0
		.amdhsa_float_round_mode_16_64 0
		.amdhsa_float_denorm_mode_32 3
		.amdhsa_float_denorm_mode_16_64 3
		.amdhsa_dx10_clamp 1
		.amdhsa_ieee_mode 1
		.amdhsa_fp16_overflow 0
		.amdhsa_tg_split 0
		.amdhsa_exception_fp_ieee_invalid_op 0
		.amdhsa_exception_fp_denorm_src 0
		.amdhsa_exception_fp_ieee_div_zero 0
		.amdhsa_exception_fp_ieee_overflow 0
		.amdhsa_exception_fp_ieee_underflow 0
		.amdhsa_exception_fp_ieee_inexact 0
		.amdhsa_exception_int_div_zero 0
	.end_amdhsa_kernel
	.text
.Lfunc_end15:
	.size	_Z18gather_rows_kernelPKfPKiPfii, .Lfunc_end15-_Z18gather_rows_kernelPKfPKiPfii
                                        ; -- End function
	.set _Z18gather_rows_kernelPKfPKiPfii.num_vgpr, 4
	.set _Z18gather_rows_kernelPKfPKiPfii.num_agpr, 0
	.set _Z18gather_rows_kernelPKfPKiPfii.numbered_sgpr, 12
	.set _Z18gather_rows_kernelPKfPKiPfii.num_named_barrier, 0
	.set _Z18gather_rows_kernelPKfPKiPfii.private_seg_size, 0
	.set _Z18gather_rows_kernelPKfPKiPfii.uses_vcc, 1
	.set _Z18gather_rows_kernelPKfPKiPfii.uses_flat_scratch, 0
	.set _Z18gather_rows_kernelPKfPKiPfii.has_dyn_sized_stack, 0
	.set _Z18gather_rows_kernelPKfPKiPfii.has_recursion, 0
	.set _Z18gather_rows_kernelPKfPKiPfii.has_indirect_call, 0
	.section	.AMDGPU.csdata,"",@progbits
; Kernel info:
; codeLenInByte = 176
; TotalNumSgprs: 18
; NumVgprs: 4
; NumAgprs: 0
; TotalNumVgprs: 4
; ScratchSize: 0
; MemoryBound: 0
; FloatMode: 240
; IeeeMode: 1
; LDSByteSize: 0 bytes/workgroup (compile time only)
; SGPRBlocks: 2
; VGPRBlocks: 0
; NumSGPRsForWavesPerEU: 18
; NumVGPRsForWavesPerEU: 4
; AccumOffset: 4
; Occupancy: 8
; WaveLimiterHint : 1
; COMPUTE_PGM_RSRC2:SCRATCH_EN: 0
; COMPUTE_PGM_RSRC2:USER_SGPR: 2
; COMPUTE_PGM_RSRC2:TRAP_HANDLER: 0
; COMPUTE_PGM_RSRC2:TGID_X_EN: 1
; COMPUTE_PGM_RSRC2:TGID_Y_EN: 1
; COMPUTE_PGM_RSRC2:TGID_Z_EN: 0
; COMPUTE_PGM_RSRC2:TIDIG_COMP_CNT: 0
; COMPUTE_PGM_RSRC3_GFX90A:ACCUM_OFFSET: 0
; COMPUTE_PGM_RSRC3_GFX90A:TG_SPLIT: 0
	.text
	.protected	_Z23build_expert_work_queuePKiPiP4Int2i ; -- Begin function _Z23build_expert_work_queuePKiPiP4Int2i
	.globl	_Z23build_expert_work_queuePKiPiP4Int2i
	.p2align	8
	.type	_Z23build_expert_work_queuePKiPiP4Int2i,@function
_Z23build_expert_work_queuePKiPiP4Int2i: ; @_Z23build_expert_work_queuePKiPiP4Int2i
; %bb.0:
	v_or_b32_e32 v0, s2, v0
	s_mov_b32 s8, 0
	v_cmp_eq_u32_e32 vcc, 0, v0
	s_and_saveexec_b64 s[2:3], vcc
	s_cbranch_execz .LBB16_8
; %bb.1:
	s_load_dword s9, s[0:1], 0x18
	s_load_dwordx2 s[4:5], s[0:1], 0x10
	s_mov_b32 s10, 0
	s_waitcnt lgkmcnt(0)
	s_cmp_lt_i32 s9, 1
	s_cbranch_scc1 .LBB16_7
; %bb.2:
	s_load_dwordx4 s[0:3], s[0:1], 0x0
	s_mov_b32 s7, 0
	v_mov_b32_e32 v0, 0
	s_mov_b32 s6, s7
	s_waitcnt lgkmcnt(0)
	s_load_dword s12, s[0:1], 0x0
.LBB16_3:                               ; =>This Inner Loop Header: Depth=1
	s_lshl_b64 s[14:15], s[6:7], 2
	s_add_u32 s14, s0, s14
	s_addc_u32 s15, s1, s15
	s_load_dword s11, s[14:15], 0x4
	s_waitcnt lgkmcnt(0)
	s_sub_i32 s13, s11, s12
	s_cmp_lt_i32 s13, 1
	s_cbranch_scc1 .LBB16_5
; %bb.4:                                ;   in Loop: Header=BB16_3 Depth=1
	s_mul_i32 s14, s10, 3
	s_ashr_i32 s15, s14, 31
	s_lshl_b64 s[14:15], s[14:15], 2
	s_add_u32 s14, s2, s14
	s_addc_u32 s15, s3, s15
	v_mov_b32_e32 v2, s6
	v_mov_b32_e32 v3, s12
	;; [unrolled: 1-line block ×3, first 2 shown]
	s_add_i32 s10, s10, 1
	s_max_i32 s8, s13, s8
	global_store_dwordx3 v0, v[2:4], s[14:15]
.LBB16_5:                               ;   in Loop: Header=BB16_3 Depth=1
	s_add_i32 s6, s6, 1
	s_cmp_eq_u32 s6, s9
	s_cbranch_scc1 .LBB16_7
; %bb.6:                                ;   in Loop: Header=BB16_3 Depth=1
	s_mov_b32 s12, s11
	s_branch .LBB16_3
.LBB16_7:
	v_mov_b32_e32 v0, s10
	v_mov_b32_e32 v1, s8
	;; [unrolled: 1-line block ×3, first 2 shown]
	global_store_dwordx2 v2, v[0:1], s[4:5]
.LBB16_8:
	s_endpgm
	.section	.rodata,"a",@progbits
	.p2align	6, 0x0
	.amdhsa_kernel _Z23build_expert_work_queuePKiPiP4Int2i
		.amdhsa_group_segment_fixed_size 0
		.amdhsa_private_segment_fixed_size 0
		.amdhsa_kernarg_size 28
		.amdhsa_user_sgpr_count 2
		.amdhsa_user_sgpr_dispatch_ptr 0
		.amdhsa_user_sgpr_queue_ptr 0
		.amdhsa_user_sgpr_kernarg_segment_ptr 1
		.amdhsa_user_sgpr_dispatch_id 0
		.amdhsa_user_sgpr_kernarg_preload_length 0
		.amdhsa_user_sgpr_kernarg_preload_offset 0
		.amdhsa_user_sgpr_private_segment_size 0
		.amdhsa_uses_dynamic_stack 0
		.amdhsa_enable_private_segment 0
		.amdhsa_system_sgpr_workgroup_id_x 1
		.amdhsa_system_sgpr_workgroup_id_y 0
		.amdhsa_system_sgpr_workgroup_id_z 0
		.amdhsa_system_sgpr_workgroup_info 0
		.amdhsa_system_vgpr_workitem_id 0
		.amdhsa_next_free_vgpr 5
		.amdhsa_next_free_sgpr 16
		.amdhsa_accum_offset 8
		.amdhsa_reserve_vcc 1
		.amdhsa_float_round_mode_32 0
		.amdhsa_float_round_mode_16_64 0
		.amdhsa_float_denorm_mode_32 3
		.amdhsa_float_denorm_mode_16_64 3
		.amdhsa_dx10_clamp 1
		.amdhsa_ieee_mode 1
		.amdhsa_fp16_overflow 0
		.amdhsa_tg_split 0
		.amdhsa_exception_fp_ieee_invalid_op 0
		.amdhsa_exception_fp_denorm_src 0
		.amdhsa_exception_fp_ieee_div_zero 0
		.amdhsa_exception_fp_ieee_overflow 0
		.amdhsa_exception_fp_ieee_underflow 0
		.amdhsa_exception_fp_ieee_inexact 0
		.amdhsa_exception_int_div_zero 0
	.end_amdhsa_kernel
	.text
.Lfunc_end16:
	.size	_Z23build_expert_work_queuePKiPiP4Int2i, .Lfunc_end16-_Z23build_expert_work_queuePKiPiP4Int2i
                                        ; -- End function
	.set _Z23build_expert_work_queuePKiPiP4Int2i.num_vgpr, 5
	.set _Z23build_expert_work_queuePKiPiP4Int2i.num_agpr, 0
	.set _Z23build_expert_work_queuePKiPiP4Int2i.numbered_sgpr, 16
	.set _Z23build_expert_work_queuePKiPiP4Int2i.num_named_barrier, 0
	.set _Z23build_expert_work_queuePKiPiP4Int2i.private_seg_size, 0
	.set _Z23build_expert_work_queuePKiPiP4Int2i.uses_vcc, 1
	.set _Z23build_expert_work_queuePKiPiP4Int2i.uses_flat_scratch, 0
	.set _Z23build_expert_work_queuePKiPiP4Int2i.has_dyn_sized_stack, 0
	.set _Z23build_expert_work_queuePKiPiP4Int2i.has_recursion, 0
	.set _Z23build_expert_work_queuePKiPiP4Int2i.has_indirect_call, 0
	.section	.AMDGPU.csdata,"",@progbits
; Kernel info:
; codeLenInByte = 212
; TotalNumSgprs: 22
; NumVgprs: 5
; NumAgprs: 0
; TotalNumVgprs: 5
; ScratchSize: 0
; MemoryBound: 0
; FloatMode: 240
; IeeeMode: 1
; LDSByteSize: 0 bytes/workgroup (compile time only)
; SGPRBlocks: 2
; VGPRBlocks: 0
; NumSGPRsForWavesPerEU: 22
; NumVGPRsForWavesPerEU: 5
; AccumOffset: 8
; Occupancy: 8
; WaveLimiterHint : 0
; COMPUTE_PGM_RSRC2:SCRATCH_EN: 0
; COMPUTE_PGM_RSRC2:USER_SGPR: 2
; COMPUTE_PGM_RSRC2:TRAP_HANDLER: 0
; COMPUTE_PGM_RSRC2:TGID_X_EN: 1
; COMPUTE_PGM_RSRC2:TGID_Y_EN: 0
; COMPUTE_PGM_RSRC2:TGID_Z_EN: 0
; COMPUTE_PGM_RSRC2:TIDIG_COMP_CNT: 0
; COMPUTE_PGM_RSRC3_GFX90A:ACCUM_OFFSET: 1
; COMPUTE_PGM_RSRC3_GFX90A:TG_SPLIT: 0
	.text
	.protected	_Z25classify_and_build_queuesPKiiiffPiS1_P8MoEStats ; -- Begin function _Z25classify_and_build_queuesPKiiiffPiS1_P8MoEStats
	.globl	_Z25classify_and_build_queuesPKiiiffPiS1_P8MoEStats
	.p2align	8
	.type	_Z25classify_and_build_queuesPKiiiffPiS1_P8MoEStats,@function
_Z25classify_and_build_queuesPKiiiffPiS1_P8MoEStats: ; @_Z25classify_and_build_queuesPKiiiffPiS1_P8MoEStats
; %bb.0:
	v_or_b32_e32 v0, s2, v0
	s_mov_b32 s18, 0
	v_cmp_eq_u32_e32 vcc, 0, v0
	s_and_saveexec_b64 s[2:3], vcc
	s_cbranch_execz .LBB17_19
; %bb.1:
	s_load_dwordx8 s[4:11], s[0:1], 0x8
	s_load_dwordx2 s[14:15], s[0:1], 0x0
	s_load_dwordx2 s[2:3], s[0:1], 0x28
	s_waitcnt lgkmcnt(0)
	s_cmp_gt_i32 s4, 0
	s_cselect_b64 s[0:1], -1, 0
	s_cmp_lt_i32 s4, 1
	s_cbranch_scc1 .LBB17_15
; %bb.2:
	s_load_dword s20, s[14:15], 0x0
	s_add_u32 s16, s14, 4
	s_addc_u32 s17, s15, 0
	s_mov_b64 s[12:13], 0
	s_mov_b32 s19, s4
.LBB17_3:                               ; =>This Inner Loop Header: Depth=1
	s_load_dword s22, s[16:17], 0x0
	s_waitcnt lgkmcnt(0)
	s_sub_i32 s23, s22, s20
	s_cmp_gt_i32 s23, 0
	s_cselect_b64 s[20:21], -1, 0
	s_max_i32 s23, s23, 0
	s_add_u32 s12, s12, s23
	s_addc_u32 s13, s13, 0
	s_cmp_lg_u64 s[20:21], 0
	s_addc_u32 s18, s18, 0
	s_add_u32 s16, s16, 4
	s_addc_u32 s17, s17, 0
	s_add_i32 s19, s19, -1
	s_cmp_eq_u32 s19, 0
	s_mov_b32 s20, s22
	s_cbranch_scc0 .LBB17_3
; %bb.4:
	s_cmp_lg_u32 s18, 0
	s_mov_b32 s19, 0
	s_cbranch_scc0 .LBB17_16
.LBB17_5:
	s_andn2_b64 vcc, exec, s[0:1]
	s_cbranch_vccnz .LBB17_17
; %bb.6:
	s_flbit_i32_b32 s0, s13
	s_min_u32 s16, s0, 32
	s_lshl_b64 s[0:1], s[12:13], s16
	s_min_u32 s0, s0, 1
	s_or_b32 s0, s1, s0
	v_cvt_f32_u32_e32 v0, s0
	v_cvt_f32_u32_e32 v1, s18
	s_sub_i32 s0, 32, s16
	s_cmp_gt_i32 s18, s5
	v_ldexp_f32 v0, v0, s0
	v_div_scale_f32 v2, s[0:1], v1, v1, v0
	v_rcp_f32_e32 v3, v2
	v_div_scale_f32 v4, vcc, v0, v1, v0
	s_cselect_b64 s[0:1], -1, 0
	v_fma_f32 v5, -v2, v3, 1.0
	v_fmac_f32_e32 v3, v5, v3
	v_mul_f32_e32 v5, v4, v3
	v_fma_f32 v6, -v2, v5, v4
	v_fmac_f32_e32 v5, v6, v3
	v_fma_f32 v2, -v2, v5, v4
	v_div_fmas_f32 v2, v2, v3, v5
	s_cmp_lt_u32 s18, 13
	v_div_fixup_f32 v0, v2, v1, v0
	v_mov_b32_e32 v1, s7
	v_mov_b32_e32 v2, s6
	s_cselect_b64 vcc, -1, 0
	v_cndmask_b32_e32 v1, v1, v2, vcc
	v_cndmask_b32_e64 v1, 1.0, v1, s[0:1]
	v_mul_f32_e32 v0, v0, v1
	v_ceil_f32_e32 v0, v0
	s_load_dword s22, s[14:15], 0x0
	v_cvt_i32_f32_e32 v0, v0
	s_mov_b32 s7, 0
	v_mov_b32_e32 v1, 0
	s_mov_b32 s5, 0
	s_mov_b32 s20, 0
	;; [unrolled: 1-line block ×3, first 2 shown]
.LBB17_7:                               ; =>This Inner Loop Header: Depth=1
	s_lshl_b64 s[16:17], s[6:7], 2
	s_add_u32 s16, s14, s16
	s_addc_u32 s17, s15, s17
	s_load_dword s21, s[16:17], 0x4
	s_waitcnt lgkmcnt(0)
	s_sub_i32 s23, s21, s22
	s_cmp_lt_i32 s23, 1
	s_cbranch_scc1 .LBB17_12
; %bb.8:                                ;   in Loop: Header=BB17_7 Depth=1
	v_cmp_lt_i32_e32 vcc, s23, v0
	s_and_b64 s[24:25], s[0:1], vcc
	s_mov_b64 s[16:17], -1
	s_and_b64 vcc, exec, s[24:25]
                                        ; implicit-def: $sgpr24
                                        ; implicit-def: $sgpr25
	s_cbranch_vccnz .LBB17_10
; %bb.9:                                ;   in Loop: Header=BB17_7 Depth=1
	s_mul_i32 s16, s19, 3
	s_ashr_i32 s17, s16, 31
	s_lshl_b64 s[16:17], s[16:17], 2
	s_add_u32 s16, s8, s16
	s_addc_u32 s17, s9, s17
	v_mov_b32_e32 v2, s6
	v_mov_b32_e32 v3, s22
	;; [unrolled: 1-line block ×3, first 2 shown]
	global_store_dwordx3 v1, v[2:4], s[16:17]
	s_add_i32 s24, s19, 1
	s_max_i32 s25, s23, s5
	s_mov_b64 s[16:17], 0
.LBB17_10:                              ;   in Loop: Header=BB17_7 Depth=1
	s_andn2_b64 vcc, exec, s[16:17]
	s_cbranch_vccnz .LBB17_14
; %bb.11:                               ;   in Loop: Header=BB17_7 Depth=1
	s_mul_i32 s16, s20, 3
	s_ashr_i32 s17, s16, 31
	s_lshl_b64 s[16:17], s[16:17], 2
	s_add_u32 s16, s10, s16
	s_addc_u32 s17, s11, s17
	v_mov_b32_e32 v2, s6
	v_mov_b32_e32 v3, s22
	v_mov_b32_e32 v4, s23
	s_add_i32 s20, s20, 1
	global_store_dwordx3 v1, v[2:4], s[16:17]
.LBB17_12:                              ;   in Loop: Header=BB17_7 Depth=1
	s_add_i32 s6, s6, 1
	s_cmp_lg_u32 s6, s4
	s_cbranch_scc0 .LBB17_18
.LBB17_13:                              ;   in Loop: Header=BB17_7 Depth=1
	s_mov_b32 s22, s21
	s_branch .LBB17_7
.LBB17_14:                              ;   in Loop: Header=BB17_7 Depth=1
	s_mov_b32 s19, s24
	s_mov_b32 s5, s25
	s_add_i32 s6, s6, 1
	s_cmp_lg_u32 s6, s4
	s_cbranch_scc1 .LBB17_13
	s_branch .LBB17_18
.LBB17_15:
	s_mov_b64 s[12:13], 0
	s_cmp_lg_u32 s18, 0
	s_mov_b32 s19, 0
	s_cbranch_scc1 .LBB17_5
.LBB17_16:
	s_mov_b64 s[12:13], 0
	s_mov_b32 s20, 0
	s_mov_b32 s5, 0
	;; [unrolled: 1-line block ×3, first 2 shown]
	s_branch .LBB17_18
.LBB17_17:
	s_mov_b32 s5, 0
	s_mov_b32 s20, 0
.LBB17_18:
	v_mov_b32_e32 v0, s19
	v_mov_b32_e32 v1, s20
	;; [unrolled: 1-line block ×5, first 2 shown]
	global_store_dwordx4 v4, v[0:3], s[2:3]
	s_nop 1
	v_mov_b64_e32 v[0:1], s[12:13]
	global_store_dwordx2 v4, v[0:1], s[2:3] offset:16
.LBB17_19:
	s_endpgm
	.section	.rodata,"a",@progbits
	.p2align	6, 0x0
	.amdhsa_kernel _Z25classify_and_build_queuesPKiiiffPiS1_P8MoEStats
		.amdhsa_group_segment_fixed_size 0
		.amdhsa_private_segment_fixed_size 0
		.amdhsa_kernarg_size 48
		.amdhsa_user_sgpr_count 2
		.amdhsa_user_sgpr_dispatch_ptr 0
		.amdhsa_user_sgpr_queue_ptr 0
		.amdhsa_user_sgpr_kernarg_segment_ptr 1
		.amdhsa_user_sgpr_dispatch_id 0
		.amdhsa_user_sgpr_kernarg_preload_length 0
		.amdhsa_user_sgpr_kernarg_preload_offset 0
		.amdhsa_user_sgpr_private_segment_size 0
		.amdhsa_uses_dynamic_stack 0
		.amdhsa_enable_private_segment 0
		.amdhsa_system_sgpr_workgroup_id_x 1
		.amdhsa_system_sgpr_workgroup_id_y 0
		.amdhsa_system_sgpr_workgroup_id_z 0
		.amdhsa_system_sgpr_workgroup_info 0
		.amdhsa_system_vgpr_workitem_id 0
		.amdhsa_next_free_vgpr 7
		.amdhsa_next_free_sgpr 26
		.amdhsa_accum_offset 8
		.amdhsa_reserve_vcc 1
		.amdhsa_float_round_mode_32 0
		.amdhsa_float_round_mode_16_64 0
		.amdhsa_float_denorm_mode_32 3
		.amdhsa_float_denorm_mode_16_64 3
		.amdhsa_dx10_clamp 1
		.amdhsa_ieee_mode 1
		.amdhsa_fp16_overflow 0
		.amdhsa_tg_split 0
		.amdhsa_exception_fp_ieee_invalid_op 0
		.amdhsa_exception_fp_denorm_src 0
		.amdhsa_exception_fp_ieee_div_zero 0
		.amdhsa_exception_fp_ieee_overflow 0
		.amdhsa_exception_fp_ieee_underflow 0
		.amdhsa_exception_fp_ieee_inexact 0
		.amdhsa_exception_int_div_zero 0
	.end_amdhsa_kernel
	.text
.Lfunc_end17:
	.size	_Z25classify_and_build_queuesPKiiiffPiS1_P8MoEStats, .Lfunc_end17-_Z25classify_and_build_queuesPKiiiffPiS1_P8MoEStats
                                        ; -- End function
	.set _Z25classify_and_build_queuesPKiiiffPiS1_P8MoEStats.num_vgpr, 7
	.set _Z25classify_and_build_queuesPKiiiffPiS1_P8MoEStats.num_agpr, 0
	.set _Z25classify_and_build_queuesPKiiiffPiS1_P8MoEStats.numbered_sgpr, 26
	.set _Z25classify_and_build_queuesPKiiiffPiS1_P8MoEStats.num_named_barrier, 0
	.set _Z25classify_and_build_queuesPKiiiffPiS1_P8MoEStats.private_seg_size, 0
	.set _Z25classify_and_build_queuesPKiiiffPiS1_P8MoEStats.uses_vcc, 1
	.set _Z25classify_and_build_queuesPKiiiffPiS1_P8MoEStats.uses_flat_scratch, 0
	.set _Z25classify_and_build_queuesPKiiiffPiS1_P8MoEStats.has_dyn_sized_stack, 0
	.set _Z25classify_and_build_queuesPKiiiffPiS1_P8MoEStats.has_recursion, 0
	.set _Z25classify_and_build_queuesPKiiiffPiS1_P8MoEStats.has_indirect_call, 0
	.section	.AMDGPU.csdata,"",@progbits
; Kernel info:
; codeLenInByte = 660
; TotalNumSgprs: 32
; NumVgprs: 7
; NumAgprs: 0
; TotalNumVgprs: 7
; ScratchSize: 0
; MemoryBound: 0
; FloatMode: 240
; IeeeMode: 1
; LDSByteSize: 0 bytes/workgroup (compile time only)
; SGPRBlocks: 3
; VGPRBlocks: 0
; NumSGPRsForWavesPerEU: 32
; NumVGPRsForWavesPerEU: 7
; AccumOffset: 8
; Occupancy: 8
; WaveLimiterHint : 0
; COMPUTE_PGM_RSRC2:SCRATCH_EN: 0
; COMPUTE_PGM_RSRC2:USER_SGPR: 2
; COMPUTE_PGM_RSRC2:TRAP_HANDLER: 0
; COMPUTE_PGM_RSRC2:TGID_X_EN: 1
; COMPUTE_PGM_RSRC2:TGID_Y_EN: 0
; COMPUTE_PGM_RSRC2:TGID_Z_EN: 0
; COMPUTE_PGM_RSRC2:TIDIG_COMP_CNT: 0
; COMPUTE_PGM_RSRC3_GFX90A:ACCUM_OFFSET: 1
; COMPUTE_PGM_RSRC3_GFX90A:TG_SPLIT: 0
	.text
	.protected	_Z14softmax_kernelPfii  ; -- Begin function _Z14softmax_kernelPfii
	.globl	_Z14softmax_kernelPfii
	.p2align	8
	.type	_Z14softmax_kernelPfii,@function
_Z14softmax_kernelPfii:                 ; @_Z14softmax_kernelPfii
; %bb.0:
	s_load_dwordx2 s[10:11], s[0:1], 0x8
	s_waitcnt lgkmcnt(0)
	s_cmp_ge_i32 s2, s10
	s_cbranch_scc1 .LBB18_41
; %bb.1:
	s_load_dword s3, s[0:1], 0x1c
	s_load_dwordx2 s[12:13], s[0:1], 0x0
	s_mul_i32 s14, s11, s2
	v_cmp_gt_i32_e32 vcc, s11, v0
	s_ashr_i32 s15, s14, 31
	s_waitcnt lgkmcnt(0)
	s_and_b32 s10, s3, 0xffff
	v_mov_b32_e32 v3, 0xff7ff023
	v_lshlrev_b32_e32 v2, 2, v0
	s_and_saveexec_b64 s[2:3], vcc
	s_cbranch_execz .LBB18_5
; %bb.2:
	s_lshl_b64 s[0:1], s[14:15], 2
	s_add_u32 s0, s12, s0
	v_mov_b32_e32 v3, 0
	s_addc_u32 s1, s13, s1
	s_mov_b32 s5, 0
	v_lshl_add_u64 v[4:5], s[0:1], 0, v[2:3]
	s_lshl_b32 s4, s10, 2
	v_mov_b32_e32 v3, 0xff7ff023
	s_mov_b64 s[6:7], 0
	v_mov_b32_e32 v1, v0
.LBB18_3:                               ; =>This Inner Loop Header: Depth=1
	global_load_dword v6, v[4:5], off
	v_add_u32_e32 v1, s10, v1
	v_cmp_le_i32_e64 s[0:1], s11, v1
	s_or_b64 s[6:7], s[0:1], s[6:7]
	v_lshl_add_u64 v[4:5], v[4:5], 0, s[4:5]
	s_waitcnt vmcnt(0)
	v_cmp_lt_f32_e64 s[0:1], v3, v6
	s_nop 1
	v_cndmask_b32_e64 v3, v3, v6, s[0:1]
	s_andn2_b64 exec, exec, s[6:7]
	s_cbranch_execnz .LBB18_3
; %bb.4:
	s_or_b64 exec, exec, s[6:7]
.LBB18_5:
	s_or_b64 exec, exec, s[2:3]
	v_mbcnt_lo_u32_b32 v1, -1, 0
	v_mbcnt_hi_u32_b32 v4, -1, v1
	v_and_b32_e32 v1, 64, v4
	v_add_u32_e32 v5, 64, v1
	v_xor_b32_e32 v1, 32, v4
	v_cmp_lt_i32_e64 s[0:1], v1, v5
	s_nop 1
	v_cndmask_b32_e64 v1, v4, v1, s[0:1]
	v_lshlrev_b32_e32 v1, 2, v1
	ds_bpermute_b32 v6, v1, v3
	s_waitcnt lgkmcnt(0)
	v_cmp_ngt_f32_e64 s[0:1], v3, v6
	s_and_saveexec_b64 s[2:3], s[0:1]
; %bb.6:
	ds_bpermute_b32 v3, v1, v3
; %bb.7:
	s_or_b64 exec, exec, s[2:3]
	v_xor_b32_e32 v6, 16, v4
	v_cmp_lt_i32_e64 s[0:1], v6, v5
	s_nop 1
	v_cndmask_b32_e64 v6, v4, v6, s[0:1]
	v_lshlrev_b32_e32 v6, 2, v6
	s_waitcnt lgkmcnt(0)
	ds_bpermute_b32 v7, v6, v3
	s_waitcnt lgkmcnt(0)
	v_cmp_ngt_f32_e64 s[0:1], v3, v7
	s_and_saveexec_b64 s[2:3], s[0:1]
; %bb.8:
	ds_bpermute_b32 v3, v6, v3
; %bb.9:
	s_or_b64 exec, exec, s[2:3]
	v_xor_b32_e32 v7, 8, v4
	v_cmp_lt_i32_e64 s[0:1], v7, v5
	s_nop 1
	v_cndmask_b32_e64 v7, v4, v7, s[0:1]
	v_lshlrev_b32_e32 v7, 2, v7
	s_waitcnt lgkmcnt(0)
	ds_bpermute_b32 v8, v7, v3
	s_waitcnt lgkmcnt(0)
	v_cmp_ngt_f32_e64 s[0:1], v3, v8
	s_and_saveexec_b64 s[2:3], s[0:1]
; %bb.10:
	ds_bpermute_b32 v3, v7, v3
; %bb.11:
	s_or_b64 exec, exec, s[2:3]
	v_xor_b32_e32 v8, 4, v4
	v_cmp_lt_i32_e64 s[0:1], v8, v5
	s_nop 1
	v_cndmask_b32_e64 v8, v4, v8, s[0:1]
	v_lshlrev_b32_e32 v8, 2, v8
	s_waitcnt lgkmcnt(0)
	ds_bpermute_b32 v9, v8, v3
	s_waitcnt lgkmcnt(0)
	v_cmp_ngt_f32_e64 s[0:1], v3, v9
	s_and_saveexec_b64 s[2:3], s[0:1]
; %bb.12:
	ds_bpermute_b32 v3, v8, v3
; %bb.13:
	s_or_b64 exec, exec, s[2:3]
	v_xor_b32_e32 v9, 2, v4
	v_cmp_lt_i32_e64 s[0:1], v9, v5
	s_nop 1
	v_cndmask_b32_e64 v9, v4, v9, s[0:1]
	v_lshlrev_b32_e32 v9, 2, v9
	s_waitcnt lgkmcnt(0)
	ds_bpermute_b32 v10, v9, v3
	s_waitcnt lgkmcnt(0)
	v_cmp_ngt_f32_e64 s[0:1], v3, v10
	s_and_saveexec_b64 s[2:3], s[0:1]
; %bb.14:
	ds_bpermute_b32 v3, v9, v3
; %bb.15:
	s_or_b64 exec, exec, s[2:3]
	v_xor_b32_e32 v10, 1, v4
	v_cmp_lt_i32_e64 s[0:1], v10, v5
	s_nop 1
	v_cndmask_b32_e64 v4, v4, v10, s[0:1]
	v_lshlrev_b32_e32 v10, 2, v4
	s_waitcnt lgkmcnt(0)
	ds_bpermute_b32 v4, v10, v3
	s_waitcnt lgkmcnt(0)
	v_cmp_ngt_f32_e64 s[0:1], v3, v4
	s_and_saveexec_b64 s[2:3], s[0:1]
; %bb.16:
	ds_bpermute_b32 v3, v10, v3
; %bb.17:
	s_or_b64 exec, exec, s[2:3]
	v_and_b32_e32 v4, 63, v0
	v_cmp_eq_u32_e64 s[0:1], 0, v4
	v_lshrrev_b32_e32 v11, 4, v0
	s_and_saveexec_b64 s[2:3], s[0:1]
	s_cbranch_execz .LBB18_19
; %bb.18:
	s_waitcnt lgkmcnt(0)
	ds_write_b32 v11, v3
.LBB18_19:
	s_or_b64 exec, exec, s[2:3]
	s_lshr_b32 s2, s10, 6
	v_cmp_gt_u32_e64 s[2:3], s2, v0
	s_waitcnt lgkmcnt(0)
	v_mov_b32_e32 v3, 0xff7ff023
	v_lshlrev_b32_e32 v12, 2, v4
	s_barrier
	s_and_saveexec_b64 s[4:5], s[2:3]
	s_cbranch_execnz .LBB18_42
; %bb.20:
	s_or_b64 exec, exec, s[4:5]
	v_cmp_gt_u32_e64 s[4:5], 64, v0
	s_and_saveexec_b64 s[8:9], s[4:5]
	s_cbranch_execnz .LBB18_43
.LBB18_21:
	s_or_b64 exec, exec, s[8:9]
	v_cmp_eq_u32_e64 s[6:7], 0, v0
	s_and_saveexec_b64 s[8:9], s[6:7]
	s_cbranch_execz .LBB18_23
.LBB18_22:
	v_mov_b32_e32 v4, 0
	s_waitcnt lgkmcnt(0)
	ds_write_b32 v4, v3 offset:132
.LBB18_23:
	s_or_b64 exec, exec, s[8:9]
	s_waitcnt lgkmcnt(0)
	v_mov_b32_e32 v3, 0
	s_barrier
	s_and_saveexec_b64 s[16:17], vcc
	s_cbranch_execz .LBB18_27
; %bb.24:
	v_mov_b32_e32 v3, 0
	ds_read_b32 v13, v3 offset:132
	s_lshl_b64 s[8:9], s[14:15], 2
	s_add_u32 s8, s12, s8
	s_addc_u32 s9, s13, s9
	s_mov_b32 s19, 0
	v_lshl_add_u64 v[4:5], s[8:9], 0, v[2:3]
	s_lshl_b32 s18, s10, 2
	s_mov_b64 s[20:21], 0
	s_mov_b32 s22, 0x3fb8aa3b
	s_mov_b32 s23, 0xc2ce8ed0
	;; [unrolled: 1-line block ×3, first 2 shown]
	v_mov_b32_e32 v2, 0x7f800000
	v_mov_b32_e32 v14, v0
.LBB18_25:                              ; =>This Inner Loop Header: Depth=1
	global_load_dword v15, v[4:5], off
	v_add_u32_e32 v14, s10, v14
	v_cmp_le_i32_e64 s[8:9], s11, v14
	s_or_b64 s[20:21], s[8:9], s[20:21]
	s_waitcnt vmcnt(0) lgkmcnt(0)
	v_sub_f32_e32 v15, v15, v13
	v_mul_f32_e32 v16, 0x3fb8aa3b, v15
	v_fma_f32 v17, v15, s22, -v16
	v_rndne_f32_e32 v18, v16
	v_fmac_f32_e32 v17, 0x32a5705f, v15
	v_sub_f32_e32 v16, v16, v18
	v_add_f32_e32 v16, v16, v17
	v_cvt_i32_f32_e32 v18, v18
	v_exp_f32_e32 v16, v16
	v_cmp_ngt_f32_e64 s[8:9], s23, v15
	v_ldexp_f32 v16, v16, v18
	s_nop 0
	v_cndmask_b32_e64 v16, 0, v16, s[8:9]
	v_cmp_nlt_f32_e64 s[8:9], s24, v15
	s_nop 1
	v_cndmask_b32_e64 v15, v2, v16, s[8:9]
	global_store_dword v[4:5], v15, off
	v_add_f32_e32 v3, v3, v15
	v_lshl_add_u64 v[4:5], v[4:5], 0, s[18:19]
	s_andn2_b64 exec, exec, s[20:21]
	s_cbranch_execnz .LBB18_25
; %bb.26:
	s_or_b64 exec, exec, s[20:21]
.LBB18_27:
	s_or_b64 exec, exec, s[16:17]
	ds_bpermute_b32 v2, v1, v3
	s_waitcnt lgkmcnt(0)
	v_add_f32_e32 v2, v3, v2
	ds_bpermute_b32 v3, v6, v2
	s_waitcnt lgkmcnt(0)
	v_add_f32_e32 v2, v2, v3
	;; [unrolled: 3-line block ×5, first 2 shown]
	ds_bpermute_b32 v3, v10, v2
	s_and_saveexec_b64 s[8:9], s[0:1]
	s_cbranch_execz .LBB18_29
; %bb.28:
	s_waitcnt lgkmcnt(0)
	v_add_f32_e32 v2, v2, v3
	ds_write_b32 v11, v2 offset:64
.LBB18_29:
	s_or_b64 exec, exec, s[8:9]
	v_mov_b32_e32 v2, 0
	s_waitcnt lgkmcnt(0)
	s_barrier
	s_and_saveexec_b64 s[0:1], s[2:3]
	s_cbranch_execnz .LBB18_56
; %bb.30:
	s_or_b64 exec, exec, s[0:1]
	s_and_saveexec_b64 s[0:1], s[4:5]
	s_cbranch_execnz .LBB18_57
.LBB18_31:
	s_or_b64 exec, exec, s[0:1]
	s_and_saveexec_b64 s[0:1], s[6:7]
	s_cbranch_execz .LBB18_33
.LBB18_32:
	v_mov_b32_e32 v1, 0
	s_waitcnt lgkmcnt(0)
	ds_write_b32 v1, v2 offset:128
.LBB18_33:
	s_or_b64 exec, exec, s[0:1]
	s_waitcnt lgkmcnt(0)
	s_barrier
	s_and_saveexec_b64 s[0:1], vcc
	s_cbranch_execz .LBB18_41
; %bb.34:
	v_mov_b32_e32 v3, 0
	ds_read_b32 v4, v3 offset:128
	v_add_u32_e32 v1, 1, v0
	v_max_i32_e32 v1, s11, v1
	s_and_b32 s0, s10, 0xffff
	v_sub_u32_e32 v1, v1, v0
	s_cmp_eq_u32 s0, 1
	v_cmp_lt_u32_e32 vcc, 1, v1
	s_cselect_b64 s[0:1], -1, 0
	s_and_b64 s[4:5], vcc, s[0:1]
	s_mov_b64 s[0:1], -1
	s_and_saveexec_b64 s[2:3], s[4:5]
	s_cbranch_execz .LBB18_38
; %bb.35:
	s_lshl_b64 s[0:1], s[14:15], 2
	s_add_u32 s4, s12, s0
	v_and_b32_e32 v5, -2, v1
	s_addc_u32 s5, s13, s1
	s_mov_b64 s[6:7], 0
	v_mov_b32_e32 v2, v0
	v_mov_b32_e32 v6, v5
.LBB18_36:                              ; =>This Inner Loop Header: Depth=1
	v_lshl_add_u64 v[8:9], v[2:3], 2, s[4:5]
	global_load_dwordx2 v[10:11], v[8:9], off
	v_add_u32_e32 v6, -2, v6
	v_cmp_eq_u32_e32 vcc, 0, v6
	s_or_b64 s[6:7], vcc, s[6:7]
	v_add_u32_e32 v2, 2, v2
	s_waitcnt vmcnt(0) lgkmcnt(0)
	v_div_scale_f32 v7, s[0:1], v4, v4, v11
	v_div_scale_f32 v13, s[0:1], v4, v4, v10
	v_rcp_f32_e32 v15, v7
	v_rcp_f32_e32 v16, v13
	v_div_scale_f32 v12, vcc, v11, v4, v11
	v_fma_f32 v17, -v7, v15, 1.0
	v_fma_f32 v18, -v13, v16, 1.0
	v_fmac_f32_e32 v15, v17, v15
	v_div_scale_f32 v14, s[0:1], v10, v4, v10
	v_fmac_f32_e32 v16, v18, v16
	v_mul_f32_e32 v17, v12, v15
	v_mul_f32_e32 v18, v14, v16
	v_fma_f32 v19, -v7, v17, v12
	v_fma_f32 v20, -v13, v18, v14
	v_fmac_f32_e32 v17, v19, v15
	v_fmac_f32_e32 v18, v20, v16
	v_fma_f32 v7, -v7, v17, v12
	v_fma_f32 v12, -v13, v18, v14
	v_div_fmas_f32 v7, v7, v15, v17
	s_mov_b64 vcc, s[0:1]
	v_div_fixup_f32 v11, v7, v4, v11
	v_div_fmas_f32 v7, v12, v16, v18
	v_div_fixup_f32 v10, v7, v4, v10
	global_store_dwordx2 v[8:9], v[10:11], off
	s_andn2_b64 exec, exec, s[6:7]
	s_cbranch_execnz .LBB18_36
; %bb.37:
	s_or_b64 exec, exec, s[6:7]
	v_cmp_ne_u32_e32 vcc, v1, v5
	v_add_u32_e32 v0, v0, v5
	s_orn2_b64 s[0:1], vcc, exec
.LBB18_38:
	s_or_b64 exec, exec, s[2:3]
	s_and_b64 exec, exec, s[0:1]
	s_cbranch_execz .LBB18_41
; %bb.39:
	s_lshl_b64 s[2:3], s[14:15], 2
	s_add_u32 s2, s12, s2
	v_mov_b32_e32 v1, 0
	s_addc_u32 s3, s13, s3
	s_mov_b32 s1, 0
	v_lshl_add_u64 v[2:3], v[0:1], 2, s[2:3]
	s_lshl_b32 s0, s10, 2
	s_mov_b64 s[2:3], 0
.LBB18_40:                              ; =>This Inner Loop Header: Depth=1
	global_load_dword v1, v[2:3], off
	v_add_u32_e32 v0, s10, v0
	v_cmp_le_i32_e32 vcc, s11, v0
	s_or_b64 s[2:3], vcc, s[2:3]
	s_waitcnt vmcnt(0) lgkmcnt(0)
	v_div_scale_f32 v5, s[4:5], v4, v4, v1
	v_rcp_f32_e32 v6, v5
	v_div_scale_f32 v7, vcc, v1, v4, v1
	v_fma_f32 v8, -v5, v6, 1.0
	v_fmac_f32_e32 v6, v8, v6
	v_mul_f32_e32 v8, v7, v6
	v_fma_f32 v9, -v5, v8, v7
	v_fmac_f32_e32 v8, v9, v6
	v_fma_f32 v5, -v5, v8, v7
	v_div_fmas_f32 v5, v5, v6, v8
	v_div_fixup_f32 v1, v5, v4, v1
	global_store_dword v[2:3], v1, off
	v_lshl_add_u64 v[2:3], v[2:3], 0, s[0:1]
	s_andn2_b64 exec, exec, s[2:3]
	s_cbranch_execnz .LBB18_40
.LBB18_41:
	s_endpgm
.LBB18_42:
	ds_read_b32 v3, v12
	s_or_b64 exec, exec, s[4:5]
	v_cmp_gt_u32_e64 s[4:5], 64, v0
	s_and_saveexec_b64 s[8:9], s[4:5]
	s_cbranch_execz .LBB18_21
.LBB18_43:
	s_waitcnt lgkmcnt(0)
	ds_bpermute_b32 v4, v1, v3
	s_waitcnt lgkmcnt(0)
	v_cmp_ngt_f32_e64 s[6:7], v3, v4
	s_and_saveexec_b64 s[16:17], s[6:7]
; %bb.44:
	ds_bpermute_b32 v3, v1, v3
; %bb.45:
	s_or_b64 exec, exec, s[16:17]
	s_waitcnt lgkmcnt(0)
	ds_bpermute_b32 v4, v6, v3
	s_waitcnt lgkmcnt(0)
	v_cmp_ngt_f32_e64 s[6:7], v3, v4
	s_and_saveexec_b64 s[16:17], s[6:7]
; %bb.46:
	ds_bpermute_b32 v3, v6, v3
; %bb.47:
	s_or_b64 exec, exec, s[16:17]
	;; [unrolled: 9-line block ×6, first 2 shown]
	s_or_b64 exec, exec, s[8:9]
	v_cmp_eq_u32_e64 s[6:7], 0, v0
	s_and_saveexec_b64 s[8:9], s[6:7]
	s_cbranch_execnz .LBB18_22
	s_branch .LBB18_23
.LBB18_56:
	ds_read_b32 v2, v12 offset:64
	s_or_b64 exec, exec, s[0:1]
	s_and_saveexec_b64 s[0:1], s[4:5]
	s_cbranch_execz .LBB18_31
.LBB18_57:
	s_waitcnt lgkmcnt(0)
	ds_bpermute_b32 v1, v1, v2
	s_waitcnt lgkmcnt(0)
	v_add_f32_e32 v1, v2, v1
	ds_bpermute_b32 v2, v6, v1
	s_waitcnt lgkmcnt(0)
	v_add_f32_e32 v1, v1, v2
	;; [unrolled: 3-line block ×6, first 2 shown]
	s_or_b64 exec, exec, s[0:1]
	s_and_saveexec_b64 s[0:1], s[6:7]
	s_cbranch_execnz .LBB18_32
	s_branch .LBB18_33
	.section	.rodata,"a",@progbits
	.p2align	6, 0x0
	.amdhsa_kernel _Z14softmax_kernelPfii
		.amdhsa_group_segment_fixed_size 136
		.amdhsa_private_segment_fixed_size 0
		.amdhsa_kernarg_size 272
		.amdhsa_user_sgpr_count 2
		.amdhsa_user_sgpr_dispatch_ptr 0
		.amdhsa_user_sgpr_queue_ptr 0
		.amdhsa_user_sgpr_kernarg_segment_ptr 1
		.amdhsa_user_sgpr_dispatch_id 0
		.amdhsa_user_sgpr_kernarg_preload_length 0
		.amdhsa_user_sgpr_kernarg_preload_offset 0
		.amdhsa_user_sgpr_private_segment_size 0
		.amdhsa_uses_dynamic_stack 0
		.amdhsa_enable_private_segment 0
		.amdhsa_system_sgpr_workgroup_id_x 1
		.amdhsa_system_sgpr_workgroup_id_y 0
		.amdhsa_system_sgpr_workgroup_id_z 0
		.amdhsa_system_sgpr_workgroup_info 0
		.amdhsa_system_vgpr_workitem_id 0
		.amdhsa_next_free_vgpr 21
		.amdhsa_next_free_sgpr 25
		.amdhsa_accum_offset 24
		.amdhsa_reserve_vcc 1
		.amdhsa_float_round_mode_32 0
		.amdhsa_float_round_mode_16_64 0
		.amdhsa_float_denorm_mode_32 3
		.amdhsa_float_denorm_mode_16_64 3
		.amdhsa_dx10_clamp 1
		.amdhsa_ieee_mode 1
		.amdhsa_fp16_overflow 0
		.amdhsa_tg_split 0
		.amdhsa_exception_fp_ieee_invalid_op 0
		.amdhsa_exception_fp_denorm_src 0
		.amdhsa_exception_fp_ieee_div_zero 0
		.amdhsa_exception_fp_ieee_overflow 0
		.amdhsa_exception_fp_ieee_underflow 0
		.amdhsa_exception_fp_ieee_inexact 0
		.amdhsa_exception_int_div_zero 0
	.end_amdhsa_kernel
	.text
.Lfunc_end18:
	.size	_Z14softmax_kernelPfii, .Lfunc_end18-_Z14softmax_kernelPfii
                                        ; -- End function
	.set _Z14softmax_kernelPfii.num_vgpr, 21
	.set _Z14softmax_kernelPfii.num_agpr, 0
	.set _Z14softmax_kernelPfii.numbered_sgpr, 25
	.set _Z14softmax_kernelPfii.num_named_barrier, 0
	.set _Z14softmax_kernelPfii.private_seg_size, 0
	.set _Z14softmax_kernelPfii.uses_vcc, 1
	.set _Z14softmax_kernelPfii.uses_flat_scratch, 0
	.set _Z14softmax_kernelPfii.has_dyn_sized_stack, 0
	.set _Z14softmax_kernelPfii.has_recursion, 0
	.set _Z14softmax_kernelPfii.has_indirect_call, 0
	.section	.AMDGPU.csdata,"",@progbits
; Kernel info:
; codeLenInByte = 2128
; TotalNumSgprs: 31
; NumVgprs: 21
; NumAgprs: 0
; TotalNumVgprs: 21
; ScratchSize: 0
; MemoryBound: 0
; FloatMode: 240
; IeeeMode: 1
; LDSByteSize: 136 bytes/workgroup (compile time only)
; SGPRBlocks: 3
; VGPRBlocks: 2
; NumSGPRsForWavesPerEU: 31
; NumVGPRsForWavesPerEU: 21
; AccumOffset: 24
; Occupancy: 8
; WaveLimiterHint : 0
; COMPUTE_PGM_RSRC2:SCRATCH_EN: 0
; COMPUTE_PGM_RSRC2:USER_SGPR: 2
; COMPUTE_PGM_RSRC2:TRAP_HANDLER: 0
; COMPUTE_PGM_RSRC2:TGID_X_EN: 1
; COMPUTE_PGM_RSRC2:TGID_Y_EN: 0
; COMPUTE_PGM_RSRC2:TGID_Z_EN: 0
; COMPUTE_PGM_RSRC2:TIDIG_COMP_CNT: 0
; COMPUTE_PGM_RSRC3_GFX90A:ACCUM_OFFSET: 5
; COMPUTE_PGM_RSRC3_GFX90A:TG_SPLIT: 0
	.text
	.protected	_Z11topk_kernelPfS_Piiii ; -- Begin function _Z11topk_kernelPfS_Piiii
	.globl	_Z11topk_kernelPfS_Piiii
	.p2align	8
	.type	_Z11topk_kernelPfS_Piiii,@function
_Z11topk_kernelPfS_Piiii:               ; @_Z11topk_kernelPfS_Piiii
; %bb.0:
	s_load_dwordx4 s[12:15], s[0:1], 0x18
	s_waitcnt lgkmcnt(0)
	s_cmp_ge_i32 s2, s12
	s_cbranch_scc1 .LBB19_19
; %bb.1:
	s_load_dwordx4 s[8:11], s[0:1], 0x0
	s_load_dwordx2 s[16:17], s[0:1], 0x10
	v_cmp_gt_i32_e32 vcc, s13, v0
	v_mov_b32_e32 v3, -1
	v_mov_b32_e32 v2, 0xff7ff023
	v_lshlrev_b32_e32 v1, 2, v0
	s_and_saveexec_b64 s[0:1], vcc
	s_cbranch_execz .LBB19_3
; %bb.2:
	s_mul_i32 s4, s13, s2
	s_ashr_i32 s5, s4, 31
	s_lshl_b64 s[4:5], s[4:5], 2
	s_waitcnt lgkmcnt(0)
	s_add_u32 s4, s8, s4
	s_addc_u32 s5, s9, s5
	global_load_dword v2, v1, s[4:5]
	v_mov_b32_e32 v3, v0
.LBB19_3:
	s_or_b64 exec, exec, s[0:1]
	v_cmp_eq_u32_e32 vcc, 0, v0
	s_waitcnt vmcnt(0)
	ds_write2st64_b32 v1, v2, v3 offset1:16
	s_waitcnt lgkmcnt(0)
	s_barrier
	s_and_saveexec_b64 s[8:9], vcc
	s_cbranch_execz .LBB19_17
; %bb.4:
	s_min_i32 s3, s14, s13
	s_cmp_lt_i32 s3, 1
	s_cbranch_scc1 .LBB19_17
; %bb.5:
	s_add_i32 s12, s13, -2
	s_add_i32 s15, s13, 7
	s_mov_b32 s20, 0
	s_mov_b32 s18, 4
	s_branch .LBB19_7
.LBB19_6:                               ;   in Loop: Header=BB19_7 Depth=1
	s_add_i32 s18, s18, 4
	s_add_i32 s15, s15, 7
	s_cmp_lg_u32 s19, s3
	s_mov_b32 s20, s19
	s_cbranch_scc0 .LBB19_17
.LBB19_7:                               ; =>This Loop Header: Depth=1
                                        ;     Child Loop BB19_10 Depth 2
                                        ;     Child Loop BB19_14 Depth 2
	s_lshl_b32 s21, s20, 2
	s_waitcnt lgkmcnt(0)
	v_mov_b32_e32 v2, s21
	ds_read_b32 v2, v2
	s_add_i32 s19, s20, 1
	s_cmp_ge_i32 s19, s13
	s_mov_b32 s0, s20
	s_cbranch_scc1 .LBB19_15
; %bb.8:                                ;   in Loop: Header=BB19_7 Depth=1
	s_not_b32 s0, s20
	s_add_i32 s0, s13, s0
	s_and_b32 s0, s0, 7
	s_cmp_eq_u32 s0, 0
	s_mov_b32 s0, s20
	s_waitcnt lgkmcnt(0)
	v_mov_b32_e32 v3, v2
	s_mov_b32 s22, s19
	s_cbranch_scc1 .LBB19_12
; %bb.9:                                ;   in Loop: Header=BB19_7 Depth=1
	s_and_b32 s1, s15, 7
	s_mov_b32 s4, 0
	s_mov_b32 s5, s18
	v_mov_b32_e32 v3, v2
	s_mov_b32 s0, s20
.LBB19_10:                              ;   Parent Loop BB19_7 Depth=1
                                        ; =>  This Inner Loop Header: Depth=2
	v_mov_b32_e32 v4, s5
	ds_read_b32 v4, v4
	s_add_i32 s4, s4, 1
	s_add_i32 s6, s20, s4
	s_waitcnt lgkmcnt(0)
	v_cmp_gt_f32_e32 vcc, v4, v3
	s_and_b64 s[22:23], vcc, exec
	s_cselect_b32 s0, s6, s0
	s_add_i32 s5, s5, 4
	v_cndmask_b32_e32 v3, v3, v4, vcc
	s_cmp_lg_u32 s1, s4
	s_cbranch_scc1 .LBB19_10
; %bb.11:                               ;   in Loop: Header=BB19_7 Depth=1
	s_add_i32 s22, s6, 1
.LBB19_12:                              ;   in Loop: Header=BB19_7 Depth=1
	s_sub_i32 s1, s12, s20
	s_cmp_lt_u32 s1, 7
	s_cbranch_scc1 .LBB19_15
; %bb.13:                               ;   in Loop: Header=BB19_7 Depth=1
	s_lshl_b32 s23, s22, 2
.LBB19_14:                              ;   Parent Loop BB19_7 Depth=1
                                        ; =>  This Inner Loop Header: Depth=2
	v_mov_b32_e32 v10, s23
	ds_read2_b32 v[4:5], v10 offset1:1
	ds_read2_b32 v[6:7], v10 offset0:2 offset1:3
	ds_read2_b32 v[8:9], v10 offset0:4 offset1:5
	;; [unrolled: 1-line block ×3, first 2 shown]
	s_waitcnt lgkmcnt(3)
	v_cmp_gt_f32_e32 vcc, v4, v3
	s_and_b64 s[4:5], vcc, exec
	s_nop 0
	v_cndmask_b32_e32 v3, v3, v4, vcc
	v_cmp_gt_f32_e32 vcc, v5, v3
	s_cselect_b32 s6, s22, s0
	s_add_i32 s7, s22, 1
	v_cndmask_b32_e32 v3, v3, v5, vcc
	s_and_b64 s[4:5], vcc, exec
	s_waitcnt lgkmcnt(2)
	v_cmp_gt_f32_e64 s[0:1], v6, v3
	s_cselect_b32 s6, s7, s6
	s_add_i32 s7, s22, 2
	v_cndmask_b32_e64 v3, v3, v6, s[0:1]
	s_and_b64 s[0:1], s[0:1], exec
	v_cmp_gt_f32_e32 vcc, v7, v3
	s_cselect_b32 s26, s7, s6
	s_add_i32 s27, s22, 3
	v_cndmask_b32_e32 v3, v3, v7, vcc
	s_and_b64 s[24:25], vcc, exec
	s_waitcnt lgkmcnt(1)
	v_cmp_gt_f32_e64 s[4:5], v8, v3
	s_cselect_b32 s24, s27, s26
	s_add_i32 s25, s22, 4
	v_cndmask_b32_e64 v3, v3, v8, s[4:5]
	s_and_b64 s[4:5], s[4:5], exec
	v_cmp_gt_f32_e64 s[0:1], v9, v3
	s_cselect_b32 s4, s25, s24
	s_add_i32 s5, s22, 5
	v_cndmask_b32_e64 v3, v3, v9, s[0:1]
	s_and_b64 s[0:1], s[0:1], exec
	s_waitcnt lgkmcnt(0)
	v_cmp_gt_f32_e64 s[6:7], v10, v3
	s_cselect_b32 s4, s5, s4
	s_add_i32 s5, s22, 6
	v_cndmask_b32_e64 v3, v3, v10, s[6:7]
	s_and_b64 s[0:1], s[6:7], exec
	v_cmp_gt_f32_e32 vcc, v11, v3
	s_cselect_b32 s4, s5, s4
	s_add_i32 s5, s22, 7
	s_and_b64 s[0:1], vcc, exec
	s_cselect_b32 s0, s5, s4
	s_add_i32 s23, s23, 32
	s_add_i32 s22, s22, 8
	v_cndmask_b32_e32 v3, v3, v11, vcc
	s_cmp_eq_u32 s22, s13
	s_cbranch_scc0 .LBB19_14
.LBB19_15:                              ;   in Loop: Header=BB19_7 Depth=1
	s_cmp_lg_u32 s0, s20
	s_cbranch_scc0 .LBB19_6
; %bb.16:                               ;   in Loop: Header=BB19_7 Depth=1
	s_lshl_b32 s0, s0, 2
	v_mov_b32_e32 v3, s0
	ds_read2st64_b32 v[4:5], v3 offset1:16
	v_mov_b32_e32 v6, s21
	ds_read_b32 v7, v6 offset:4096
	s_waitcnt lgkmcnt(1)
	ds_write_b32 v6, v4
	ds_write_b32 v6, v5 offset:4096
	s_waitcnt lgkmcnt(2)
	ds_write2st64_b32 v3, v2, v7 offset1:16
	s_branch .LBB19_6
.LBB19_17:
	s_or_b64 exec, exec, s[8:9]
	v_cmp_gt_i32_e32 vcc, s14, v0
	s_waitcnt lgkmcnt(0)
	s_barrier
	s_and_saveexec_b64 s[0:1], vcc
	s_cbranch_execz .LBB19_19
; %bb.18:
	v_or_b32_e32 v0, 0x1000, v1
	s_mul_i32 s0, s14, s2
	s_ashr_i32 s1, s0, 31
	ds_read_b32 v2, v1
	ds_read_b32 v0, v0
	s_lshl_b64 s[0:1], s[0:1], 2
	s_add_u32 s2, s10, s0
	s_addc_u32 s3, s11, s1
	s_add_u32 s0, s16, s0
	s_addc_u32 s1, s17, s1
	s_waitcnt lgkmcnt(1)
	global_store_dword v1, v2, s[2:3]
	s_waitcnt lgkmcnt(0)
	global_store_dword v1, v0, s[0:1]
.LBB19_19:
	s_endpgm
	.section	.rodata,"a",@progbits
	.p2align	6, 0x0
	.amdhsa_kernel _Z11topk_kernelPfS_Piiii
		.amdhsa_group_segment_fixed_size 8192
		.amdhsa_private_segment_fixed_size 0
		.amdhsa_kernarg_size 36
		.amdhsa_user_sgpr_count 2
		.amdhsa_user_sgpr_dispatch_ptr 0
		.amdhsa_user_sgpr_queue_ptr 0
		.amdhsa_user_sgpr_kernarg_segment_ptr 1
		.amdhsa_user_sgpr_dispatch_id 0
		.amdhsa_user_sgpr_kernarg_preload_length 0
		.amdhsa_user_sgpr_kernarg_preload_offset 0
		.amdhsa_user_sgpr_private_segment_size 0
		.amdhsa_uses_dynamic_stack 0
		.amdhsa_enable_private_segment 0
		.amdhsa_system_sgpr_workgroup_id_x 1
		.amdhsa_system_sgpr_workgroup_id_y 0
		.amdhsa_system_sgpr_workgroup_id_z 0
		.amdhsa_system_sgpr_workgroup_info 0
		.amdhsa_system_vgpr_workitem_id 0
		.amdhsa_next_free_vgpr 12
		.amdhsa_next_free_sgpr 28
		.amdhsa_accum_offset 12
		.amdhsa_reserve_vcc 1
		.amdhsa_float_round_mode_32 0
		.amdhsa_float_round_mode_16_64 0
		.amdhsa_float_denorm_mode_32 3
		.amdhsa_float_denorm_mode_16_64 3
		.amdhsa_dx10_clamp 1
		.amdhsa_ieee_mode 1
		.amdhsa_fp16_overflow 0
		.amdhsa_tg_split 0
		.amdhsa_exception_fp_ieee_invalid_op 0
		.amdhsa_exception_fp_denorm_src 0
		.amdhsa_exception_fp_ieee_div_zero 0
		.amdhsa_exception_fp_ieee_overflow 0
		.amdhsa_exception_fp_ieee_underflow 0
		.amdhsa_exception_fp_ieee_inexact 0
		.amdhsa_exception_int_div_zero 0
	.end_amdhsa_kernel
	.text
.Lfunc_end19:
	.size	_Z11topk_kernelPfS_Piiii, .Lfunc_end19-_Z11topk_kernelPfS_Piiii
                                        ; -- End function
	.set _Z11topk_kernelPfS_Piiii.num_vgpr, 12
	.set _Z11topk_kernelPfS_Piiii.num_agpr, 0
	.set _Z11topk_kernelPfS_Piiii.numbered_sgpr, 28
	.set _Z11topk_kernelPfS_Piiii.num_named_barrier, 0
	.set _Z11topk_kernelPfS_Piiii.private_seg_size, 0
	.set _Z11topk_kernelPfS_Piiii.uses_vcc, 1
	.set _Z11topk_kernelPfS_Piiii.uses_flat_scratch, 0
	.set _Z11topk_kernelPfS_Piiii.has_dyn_sized_stack, 0
	.set _Z11topk_kernelPfS_Piiii.has_recursion, 0
	.set _Z11topk_kernelPfS_Piiii.has_indirect_call, 0
	.section	.AMDGPU.csdata,"",@progbits
; Kernel info:
; codeLenInByte = 788
; TotalNumSgprs: 34
; NumVgprs: 12
; NumAgprs: 0
; TotalNumVgprs: 12
; ScratchSize: 0
; MemoryBound: 0
; FloatMode: 240
; IeeeMode: 1
; LDSByteSize: 8192 bytes/workgroup (compile time only)
; SGPRBlocks: 4
; VGPRBlocks: 1
; NumSGPRsForWavesPerEU: 34
; NumVGPRsForWavesPerEU: 12
; AccumOffset: 12
; Occupancy: 8
; WaveLimiterHint : 0
; COMPUTE_PGM_RSRC2:SCRATCH_EN: 0
; COMPUTE_PGM_RSRC2:USER_SGPR: 2
; COMPUTE_PGM_RSRC2:TRAP_HANDLER: 0
; COMPUTE_PGM_RSRC2:TGID_X_EN: 1
; COMPUTE_PGM_RSRC2:TGID_Y_EN: 0
; COMPUTE_PGM_RSRC2:TGID_Z_EN: 0
; COMPUTE_PGM_RSRC2:TIDIG_COMP_CNT: 0
; COMPUTE_PGM_RSRC3_GFX90A:ACCUM_OFFSET: 2
; COMPUTE_PGM_RSRC3_GFX90A:TG_SPLIT: 0
	.text
	.protected	_Z13vecadd_kernelPfS_fii ; -- Begin function _Z13vecadd_kernelPfS_fii
	.globl	_Z13vecadd_kernelPfS_fii
	.p2align	8
	.type	_Z13vecadd_kernelPfS_fii,@function
_Z13vecadd_kernelPfS_fii:               ; @_Z13vecadd_kernelPfS_fii
; %bb.0:
	s_load_dword s8, s[0:1], 0x2c
	s_load_dwordx4 s[4:7], s[0:1], 0x10
	s_waitcnt lgkmcnt(0)
	s_and_b32 s7, s8, 0xffff
	s_mul_i32 s2, s2, s7
	v_add_u32_e32 v0, s2, v0
	s_cmp_lt_i32 s3, s5
	s_cselect_b64 s[8:9], -1, 0
	v_cmp_gt_i32_e32 vcc, s6, v0
	s_and_b64 s[8:9], s[8:9], vcc
	s_and_saveexec_b64 s[10:11], s[8:9]
	s_cbranch_execz .LBB20_2
; %bb.1:
	s_load_dwordx4 s[8:11], s[0:1], 0x0
	s_mul_i32 s0, s6, s3
	v_add_u32_e32 v0, s0, v0
	v_ashrrev_i32_e32 v1, 31, v0
	v_lshlrev_b64 v[0:1], 2, v[0:1]
	s_waitcnt lgkmcnt(0)
	v_lshl_add_u64 v[2:3], s[10:11], 0, v[0:1]
	v_lshl_add_u64 v[0:1], s[8:9], 0, v[0:1]
	global_load_dword v2, v[2:3], off
	s_nop 0
	global_load_dword v3, v[0:1], off
	s_waitcnt vmcnt(0)
	v_fmac_f32_e32 v3, s4, v2
	global_store_dword v[0:1], v3, off
.LBB20_2:
	s_endpgm
	.section	.rodata,"a",@progbits
	.p2align	6, 0x0
	.amdhsa_kernel _Z13vecadd_kernelPfS_fii
		.amdhsa_group_segment_fixed_size 0
		.amdhsa_private_segment_fixed_size 0
		.amdhsa_kernarg_size 288
		.amdhsa_user_sgpr_count 2
		.amdhsa_user_sgpr_dispatch_ptr 0
		.amdhsa_user_sgpr_queue_ptr 0
		.amdhsa_user_sgpr_kernarg_segment_ptr 1
		.amdhsa_user_sgpr_dispatch_id 0
		.amdhsa_user_sgpr_kernarg_preload_length 0
		.amdhsa_user_sgpr_kernarg_preload_offset 0
		.amdhsa_user_sgpr_private_segment_size 0
		.amdhsa_uses_dynamic_stack 0
		.amdhsa_enable_private_segment 0
		.amdhsa_system_sgpr_workgroup_id_x 1
		.amdhsa_system_sgpr_workgroup_id_y 1
		.amdhsa_system_sgpr_workgroup_id_z 0
		.amdhsa_system_sgpr_workgroup_info 0
		.amdhsa_system_vgpr_workitem_id 0
		.amdhsa_next_free_vgpr 4
		.amdhsa_next_free_sgpr 12
		.amdhsa_accum_offset 4
		.amdhsa_reserve_vcc 1
		.amdhsa_float_round_mode_32 0
		.amdhsa_float_round_mode_16_64 0
		.amdhsa_float_denorm_mode_32 3
		.amdhsa_float_denorm_mode_16_64 3
		.amdhsa_dx10_clamp 1
		.amdhsa_ieee_mode 1
		.amdhsa_fp16_overflow 0
		.amdhsa_tg_split 0
		.amdhsa_exception_fp_ieee_invalid_op 0
		.amdhsa_exception_fp_denorm_src 0
		.amdhsa_exception_fp_ieee_div_zero 0
		.amdhsa_exception_fp_ieee_overflow 0
		.amdhsa_exception_fp_ieee_underflow 0
		.amdhsa_exception_fp_ieee_inexact 0
		.amdhsa_exception_int_div_zero 0
	.end_amdhsa_kernel
	.text
.Lfunc_end20:
	.size	_Z13vecadd_kernelPfS_fii, .Lfunc_end20-_Z13vecadd_kernelPfS_fii
                                        ; -- End function
	.set _Z13vecadd_kernelPfS_fii.num_vgpr, 4
	.set _Z13vecadd_kernelPfS_fii.num_agpr, 0
	.set _Z13vecadd_kernelPfS_fii.numbered_sgpr, 12
	.set _Z13vecadd_kernelPfS_fii.num_named_barrier, 0
	.set _Z13vecadd_kernelPfS_fii.private_seg_size, 0
	.set _Z13vecadd_kernelPfS_fii.uses_vcc, 1
	.set _Z13vecadd_kernelPfS_fii.uses_flat_scratch, 0
	.set _Z13vecadd_kernelPfS_fii.has_dyn_sized_stack, 0
	.set _Z13vecadd_kernelPfS_fii.has_recursion, 0
	.set _Z13vecadd_kernelPfS_fii.has_indirect_call, 0
	.section	.AMDGPU.csdata,"",@progbits
; Kernel info:
; codeLenInByte = 148
; TotalNumSgprs: 18
; NumVgprs: 4
; NumAgprs: 0
; TotalNumVgprs: 4
; ScratchSize: 0
; MemoryBound: 0
; FloatMode: 240
; IeeeMode: 1
; LDSByteSize: 0 bytes/workgroup (compile time only)
; SGPRBlocks: 2
; VGPRBlocks: 0
; NumSGPRsForWavesPerEU: 18
; NumVGPRsForWavesPerEU: 4
; AccumOffset: 4
; Occupancy: 8
; WaveLimiterHint : 0
; COMPUTE_PGM_RSRC2:SCRATCH_EN: 0
; COMPUTE_PGM_RSRC2:USER_SGPR: 2
; COMPUTE_PGM_RSRC2:TRAP_HANDLER: 0
; COMPUTE_PGM_RSRC2:TGID_X_EN: 1
; COMPUTE_PGM_RSRC2:TGID_Y_EN: 1
; COMPUTE_PGM_RSRC2:TGID_Z_EN: 0
; COMPUTE_PGM_RSRC2:TIDIG_COMP_CNT: 0
; COMPUTE_PGM_RSRC3_GFX90A:ACCUM_OFFSET: 0
; COMPUTE_PGM_RSRC3_GFX90A:TG_SPLIT: 0
	.text
	.protected	_Z22vecadd_and_zero_kernelPfS_fii ; -- Begin function _Z22vecadd_and_zero_kernelPfS_fii
	.globl	_Z22vecadd_and_zero_kernelPfS_fii
	.p2align	8
	.type	_Z22vecadd_and_zero_kernelPfS_fii,@function
_Z22vecadd_and_zero_kernelPfS_fii:      ; @_Z22vecadd_and_zero_kernelPfS_fii
; %bb.0:
	s_load_dword s8, s[0:1], 0x2c
	s_load_dwordx4 s[4:7], s[0:1], 0x10
	s_waitcnt lgkmcnt(0)
	s_and_b32 s7, s8, 0xffff
	s_mul_i32 s2, s2, s7
	v_add_u32_e32 v0, s2, v0
	s_cmp_lt_i32 s3, s5
	s_cselect_b64 s[8:9], -1, 0
	v_cmp_gt_i32_e32 vcc, s6, v0
	s_and_b64 s[8:9], s[8:9], vcc
	s_and_saveexec_b64 s[10:11], s[8:9]
	s_cbranch_execz .LBB21_2
; %bb.1:
	s_load_dwordx4 s[8:11], s[0:1], 0x0
	s_mul_i32 s0, s6, s3
	v_add_u32_e32 v0, s0, v0
	v_ashrrev_i32_e32 v1, 31, v0
	v_lshlrev_b64 v[0:1], 2, v[0:1]
	s_waitcnt lgkmcnt(0)
	v_lshl_add_u64 v[2:3], s[10:11], 0, v[0:1]
	v_lshl_add_u64 v[0:1], s[8:9], 0, v[0:1]
	global_load_dword v4, v[2:3], off
	global_load_dword v5, v[0:1], off
	v_mov_b32_e32 v6, 0
	s_waitcnt vmcnt(0)
	v_fmac_f32_e32 v5, s4, v4
	global_store_dword v[0:1], v5, off
	global_store_dword v[2:3], v6, off
.LBB21_2:
	s_endpgm
	.section	.rodata,"a",@progbits
	.p2align	6, 0x0
	.amdhsa_kernel _Z22vecadd_and_zero_kernelPfS_fii
		.amdhsa_group_segment_fixed_size 0
		.amdhsa_private_segment_fixed_size 0
		.amdhsa_kernarg_size 288
		.amdhsa_user_sgpr_count 2
		.amdhsa_user_sgpr_dispatch_ptr 0
		.amdhsa_user_sgpr_queue_ptr 0
		.amdhsa_user_sgpr_kernarg_segment_ptr 1
		.amdhsa_user_sgpr_dispatch_id 0
		.amdhsa_user_sgpr_kernarg_preload_length 0
		.amdhsa_user_sgpr_kernarg_preload_offset 0
		.amdhsa_user_sgpr_private_segment_size 0
		.amdhsa_uses_dynamic_stack 0
		.amdhsa_enable_private_segment 0
		.amdhsa_system_sgpr_workgroup_id_x 1
		.amdhsa_system_sgpr_workgroup_id_y 1
		.amdhsa_system_sgpr_workgroup_id_z 0
		.amdhsa_system_sgpr_workgroup_info 0
		.amdhsa_system_vgpr_workitem_id 0
		.amdhsa_next_free_vgpr 7
		.amdhsa_next_free_sgpr 12
		.amdhsa_accum_offset 8
		.amdhsa_reserve_vcc 1
		.amdhsa_float_round_mode_32 0
		.amdhsa_float_round_mode_16_64 0
		.amdhsa_float_denorm_mode_32 3
		.amdhsa_float_denorm_mode_16_64 3
		.amdhsa_dx10_clamp 1
		.amdhsa_ieee_mode 1
		.amdhsa_fp16_overflow 0
		.amdhsa_tg_split 0
		.amdhsa_exception_fp_ieee_invalid_op 0
		.amdhsa_exception_fp_denorm_src 0
		.amdhsa_exception_fp_ieee_div_zero 0
		.amdhsa_exception_fp_ieee_overflow 0
		.amdhsa_exception_fp_ieee_underflow 0
		.amdhsa_exception_fp_ieee_inexact 0
		.amdhsa_exception_int_div_zero 0
	.end_amdhsa_kernel
	.text
.Lfunc_end21:
	.size	_Z22vecadd_and_zero_kernelPfS_fii, .Lfunc_end21-_Z22vecadd_and_zero_kernelPfS_fii
                                        ; -- End function
	.set _Z22vecadd_and_zero_kernelPfS_fii.num_vgpr, 7
	.set _Z22vecadd_and_zero_kernelPfS_fii.num_agpr, 0
	.set _Z22vecadd_and_zero_kernelPfS_fii.numbered_sgpr, 12
	.set _Z22vecadd_and_zero_kernelPfS_fii.num_named_barrier, 0
	.set _Z22vecadd_and_zero_kernelPfS_fii.private_seg_size, 0
	.set _Z22vecadd_and_zero_kernelPfS_fii.uses_vcc, 1
	.set _Z22vecadd_and_zero_kernelPfS_fii.uses_flat_scratch, 0
	.set _Z22vecadd_and_zero_kernelPfS_fii.has_dyn_sized_stack, 0
	.set _Z22vecadd_and_zero_kernelPfS_fii.has_recursion, 0
	.set _Z22vecadd_and_zero_kernelPfS_fii.has_indirect_call, 0
	.section	.AMDGPU.csdata,"",@progbits
; Kernel info:
; codeLenInByte = 156
; TotalNumSgprs: 18
; NumVgprs: 7
; NumAgprs: 0
; TotalNumVgprs: 7
; ScratchSize: 0
; MemoryBound: 0
; FloatMode: 240
; IeeeMode: 1
; LDSByteSize: 0 bytes/workgroup (compile time only)
; SGPRBlocks: 2
; VGPRBlocks: 0
; NumSGPRsForWavesPerEU: 18
; NumVGPRsForWavesPerEU: 7
; AccumOffset: 8
; Occupancy: 8
; WaveLimiterHint : 0
; COMPUTE_PGM_RSRC2:SCRATCH_EN: 0
; COMPUTE_PGM_RSRC2:USER_SGPR: 2
; COMPUTE_PGM_RSRC2:TRAP_HANDLER: 0
; COMPUTE_PGM_RSRC2:TGID_X_EN: 1
; COMPUTE_PGM_RSRC2:TGID_Y_EN: 1
; COMPUTE_PGM_RSRC2:TGID_Z_EN: 0
; COMPUTE_PGM_RSRC2:TIDIG_COMP_CNT: 0
; COMPUTE_PGM_RSRC3_GFX90A:ACCUM_OFFSET: 1
; COMPUTE_PGM_RSRC3_GFX90A:TG_SPLIT: 0
	.section	.text._Z22fa2_decode_mfma_head64I14__hip_bfloat16Lb1ELi16ELi16EEvPKfPKvS4_S2_PKS0_PfiiiiiiiiPKiS9_xPKxS9_S9_i,"axG",@progbits,_Z22fa2_decode_mfma_head64I14__hip_bfloat16Lb1ELi16ELi16EEvPKfPKvS4_S2_PKS0_PfiiiiiiiiPKiS9_xPKxS9_S9_i,comdat
	.protected	_Z22fa2_decode_mfma_head64I14__hip_bfloat16Lb1ELi16ELi16EEvPKfPKvS4_S2_PKS0_PfiiiiiiiiPKiS9_xPKxS9_S9_i ; -- Begin function _Z22fa2_decode_mfma_head64I14__hip_bfloat16Lb1ELi16ELi16EEvPKfPKvS4_S2_PKS0_PfiiiiiiiiPKiS9_xPKxS9_S9_i
	.globl	_Z22fa2_decode_mfma_head64I14__hip_bfloat16Lb1ELi16ELi16EEvPKfPKvS4_S2_PKS0_PfiiiiiiiiPKiS9_xPKxS9_S9_i
	.p2align	8
	.type	_Z22fa2_decode_mfma_head64I14__hip_bfloat16Lb1ELi16ELi16EEvPKfPKvS4_S2_PKS0_PfiiiiiiiiPKiS9_xPKxS9_S9_i,@function
_Z22fa2_decode_mfma_head64I14__hip_bfloat16Lb1ELi16ELi16EEvPKfPKvS4_S2_PKS0_PfiiiiiiiiPKiS9_xPKxS9_S9_i: ; @_Z22fa2_decode_mfma_head64I14__hip_bfloat16Lb1ELi16ELi16EEvPKfPKvS4_S2_PKS0_PfiiiiiiiiPKiS9_xPKxS9_S9_i
; %bb.0:
	s_load_dwordx2 s[12:13], s[0:1], 0x30
	s_load_dwordx2 s[40:41], s[0:1], 0x3c
	v_cmp_gt_u32_e32 vcc, 64, v0
	s_waitcnt lgkmcnt(0)
	s_cmp_lt_i32 s3, s12
	s_cselect_b64 s[4:5], -1, 0
	s_and_b64 s[4:5], vcc, s[4:5]
	s_cmp_gt_i32 s41, 0
	s_cselect_b64 s[8:9], -1, 0
	s_and_b64 s[4:5], s[4:5], s[8:9]
	s_and_saveexec_b64 s[8:9], s[4:5]
	s_cbranch_execz .LBB22_228
; %bb.1:
	s_load_dwordx2 s[8:9], s[0:1], 0x48
	s_mul_i32 s34, s41, s2
	s_waitcnt lgkmcnt(0)
	s_cmp_ge_i32 s34, s9
	s_cbranch_scc1 .LBB22_228
; %bb.2:
	s_mov_b32 s6, s3
	s_load_dwordx4 s[20:23], s[0:1], 0x50
	s_load_dwordx2 s[14:15], s[0:1], 0x78
	s_load_dwordx4 s[16:19], s[0:1], 0x68
	s_load_dwordx2 s[10:11], s[0:1], 0x0
	s_ashr_i32 s7, s3, 31
	s_lshl_b64 s[24:25], s[6:7], 2
	s_waitcnt lgkmcnt(0)
	s_add_u32 s4, s20, s24
	s_addc_u32 s5, s21, s25
	s_ashr_i32 s21, s8, 31
	s_mov_b32 s20, s8
	s_lshl_b64 s[26:27], s[20:21], 2
	s_add_u32 s14, s14, s26
	s_addc_u32 s15, s15, s27
	s_lshl_b64 s[20:21], s[20:21], 3
	s_add_u32 s16, s16, s20
	s_addc_u32 s17, s17, s21
	s_add_u32 s18, s18, s26
	s_addc_u32 s19, s19, s27
	;; [unrolled: 2-line block ×3, first 2 shown]
	v_cmp_gt_u32_e64 s[30:31], 16, v0
	s_and_saveexec_b64 s[22:23], s[30:31]
; %bb.3:
	v_lshlrev_b32_e32 v1, 2, v0
	v_mov_b32_e32 v2, 0xff800000
	v_mov_b32_e32 v3, 0
	v_add_u32_e32 v1, 0x1000, v1
	ds_write2_b32 v1, v3, v2 offset0:144 offset1:160
; %bb.4:
	s_or_b64 exec, exec, s[22:23]
	s_mul_hi_i32 s43, s6, s9
	s_mul_i32 s42, s6, s9
	v_and_b32_e32 v50, 15, v0
	s_lshl_b64 s[6:7], s[42:43], 8
	v_rsq_f32_e32 v2, 0x42800000
	v_add_u32_e32 v4, s34, v50
	s_add_u32 s6, s10, s6
	v_ashrrev_i32_e32 v5, 31, v4
	v_lshrrev_b32_e32 v22, 2, v0
	s_addc_u32 s7, s11, s7
	v_lshlrev_b64 v[4:5], 8, v[4:5]
	v_and_b32_e32 v51, 12, v22
	v_cmp_gt_u32_e64 s[28:29], s41, v50
	v_lshl_add_u64 v[4:5], s[6:7], 0, v[4:5]
	v_mov_b32_e32 v26, 0
	v_lshlrev_b32_e32 v24, 2, v51
	v_mov_b32_e32 v28, 0
	v_mov_b32_e32 v29, 0
	s_waitcnt lgkmcnt(0)
	s_barrier
	s_and_saveexec_b64 s[6:7], s[28:29]
	s_cbranch_execz .LBB22_6
; %bb.5:
	v_mov_b32_e32 v25, 0
	v_lshl_add_u64 v[6:7], v[4:5], 0, v[24:25]
	v_lshl_or_b32 v10, v22, 2, 12
	v_mov_b32_e32 v11, v25
	global_load_dwordx3 v[6:8], v[6:7], off
	v_lshl_add_u64 v[10:11], v[4:5], 0, v[10:11]
	global_load_dword v9, v[10:11], off
	s_waitcnt vmcnt(1)
	v_pk_mul_f32 v[6:7], v[2:3], v[6:7] op_sel_hi:[0,1]
	v_cvt_pk_bf16_f32 v28, v6, v7
	s_waitcnt vmcnt(0)
	v_pk_mul_f32 v[6:7], v[2:3], v[8:9] op_sel_hi:[0,1]
	v_cvt_pk_bf16_f32 v29, v6, v7
.LBB22_6:
	s_or_b64 exec, exec, s[6:7]
	v_mov_b32_e32 v27, 0
	s_and_saveexec_b64 s[6:7], s[28:29]
	s_cbranch_execz .LBB22_8
; %bb.7:
	v_mov_b32_e32 v25, 0
	v_mov_b32_e32 v1, 0x4c
	v_lshl_add_u64 v[6:7], v[4:5], 0, v[24:25]
	v_lshl_or_b32 v10, v22, 2, v1
	v_mov_b32_e32 v11, v25
	global_load_dwordx3 v[6:8], v[6:7], off offset:64
	v_lshl_add_u64 v[10:11], v[4:5], 0, v[10:11]
	global_load_dword v9, v[10:11], off
	s_waitcnt vmcnt(1)
	v_pk_mul_f32 v[6:7], v[2:3], v[6:7] op_sel_hi:[0,1]
	v_cvt_pk_bf16_f32 v26, v6, v7
	s_waitcnt vmcnt(0)
	v_pk_mul_f32 v[6:7], v[2:3], v[8:9] op_sel_hi:[0,1]
	v_cvt_pk_bf16_f32 v27, v6, v7
.LBB22_8:
	s_or_b64 exec, exec, s[6:7]
	v_mov_b32_e32 v30, 0
	v_mov_b32_e32 v32, 0
	;; [unrolled: 1-line block ×3, first 2 shown]
	s_and_saveexec_b64 s[6:7], s[28:29]
	s_cbranch_execz .LBB22_10
; %bb.9:
	v_mov_b32_e32 v25, 0
	v_mov_b32_e32 v1, 0x8c
	v_lshl_add_u64 v[6:7], v[4:5], 0, v[24:25]
	v_lshl_or_b32 v10, v22, 2, v1
	v_mov_b32_e32 v11, v25
	global_load_dwordx3 v[6:8], v[6:7], off offset:128
	v_lshl_add_u64 v[10:11], v[4:5], 0, v[10:11]
	global_load_dword v9, v[10:11], off
	s_waitcnt vmcnt(1)
	v_pk_mul_f32 v[6:7], v[2:3], v[6:7] op_sel_hi:[0,1]
	v_cvt_pk_bf16_f32 v32, v6, v7
	s_waitcnt vmcnt(0)
	v_pk_mul_f32 v[6:7], v[2:3], v[8:9] op_sel_hi:[0,1]
	v_cvt_pk_bf16_f32 v33, v6, v7
.LBB22_10:
	s_or_b64 exec, exec, s[6:7]
	s_load_dword s35, s[4:5], 0x0
	v_mov_b32_e32 v31, 0
	s_and_saveexec_b64 s[4:5], s[28:29]
	s_cbranch_execz .LBB22_12
; %bb.11:
	v_mov_b32_e32 v25, 0
	v_mov_b32_e32 v1, 0xcc
	v_lshl_add_u64 v[6:7], v[4:5], 0, v[24:25]
	v_lshl_or_b32 v10, v22, 2, v1
	v_mov_b32_e32 v11, v25
	global_load_dwordx3 v[6:8], v[6:7], off offset:192
	v_lshl_add_u64 v[4:5], v[4:5], 0, v[10:11]
	global_load_dword v5, v[4:5], off
	s_waitcnt vmcnt(1)
	v_mov_b32_e32 v4, v8
	v_pk_mul_f32 v[6:7], v[2:3], v[6:7] op_sel_hi:[0,1]
	s_waitcnt vmcnt(0)
	v_pk_mul_f32 v[2:3], v[2:3], v[4:5] op_sel_hi:[0,1]
	v_cvt_pk_bf16_f32 v30, v6, v7
	v_cvt_pk_bf16_f32 v31, v2, v3
.LBB22_12:
	s_or_b64 exec, exec, s[4:5]
	s_load_dwordx4 s[36:39], s[0:1], 0x20
	s_min_u32 s33, s41, 16
	s_mov_b32 s58, 0
	s_waitcnt lgkmcnt(0)
	s_cmp_gt_i32 s35, -1
	v_cmp_gt_u32_e64 s[4:5], s41, v51
	v_cmp_eq_u32_e64 s[6:7], 0, v50
	v_or_b32_e32 v53, 1, v51
	v_or_b32_e32 v52, 2, v51
	;; [unrolled: 1-line block ×3, first 2 shown]
	s_cbranch_scc0 .LBB22_177
; %bb.13:
	s_load_dwordx4 s[8:11], s[0:1], 0x8
	s_load_dwordx2 s[22:23], s[0:1], 0x18
	s_load_dword s3, s[0:1], 0x80
	s_load_dwordx2 s[24:25], s[16:17], 0x0
	s_load_dword s12, s[14:15], 0x0
	s_load_dword s59, s[18:19], 0x0
	;; [unrolled: 1-line block ×3, first 2 shown]
	s_waitcnt lgkmcnt(0)
	s_add_i32 s0, s3, -1
	s_cmp_lt_u32 s0, 16
	s_cselect_b32 s60, s3, 16
	s_add_i32 s0, s59, -1
	s_add_i32 s61, s35, 1
	s_and_b32 s0, s59, s0
	s_cmp_lg_u32 s0, 0
	s_cselect_b64 s[44:45], -1, 0
	s_ashr_i32 s0, s26, 31
	s_mul_i32 s3, s59, s40
	s_mul_hi_i32 s1, s59, s40
	s_mul_i32 s0, s3, s0
	s_mul_hi_u32 s16, s3, s26
	s_add_i32 s0, s16, s0
	s_mul_i32 s1, s1, s26
	s_ashr_i32 s15, s40, 31
	s_add_i32 s1, s0, s1
	s_mul_i32 s3, s3, s26
	s_add_u32 s0, s3, s24
	s_addc_u32 s1, s1, s25
	s_lshl_b64 s[16:17], s[0:1], 1
	v_mov_b32_e32 v7, 0x800
	s_add_u32 s0, s8, s16
	v_lshl_or_b32 v7, v50, 5, v7
	v_lshlrev_b32_e32 v8, 1, v51
	v_lshlrev_b32_e32 v9, 1, v25
	s_addc_u32 s1, s9, s17
	v_or_b32_e32 v56, v7, v8
	v_add_u32_e32 v57, v7, v9
	v_lshlrev_b32_e32 v7, 5, v0
	s_add_u32 s26, s10, s16
	v_or_b32_e32 v10, 0x600, v7
	s_mov_b32 s14, s40
	s_addc_u32 s27, s11, s17
	s_ashr_i32 s3, s2, 31
	v_mbcnt_lo_u32_b32 v2, -1, 0
	v_add_u32_e32 v10, 0x800, v10
	v_add_u32_e32 v60, 0x800, v7
	v_lshlrev_b32_e32 v7, 1, v22
	s_lshl_b64 s[46:47], s[2:3], 7
	s_lshl_b64 s[48:49], s[14:15], 1
	v_lshlrev_b32_e32 v1, 7, v50
	v_mbcnt_hi_u32_b32 v2, -1, v2
	v_or_b32_e32 v58, v10, v8
	v_add_u32_e32 v59, v10, v9
	v_or_b32_e32 v10, 38, v7
	s_cmp_lg_u32 s12, 0
	v_bitop3_b32 v4, v2, 15, v2 bitop3:0xc
	v_add_u32_e32 v63, v1, v10
	v_or_b32_e32 v10, 0x46, v7
	v_or_b32_e32 v7, 0x66, v7
	s_cselect_b64 s[50:51], -1, 0
	s_ashr_i32 s2, s13, 31
	v_or_b32_e32 v61, v1, v8
	v_add_u32_e32 v62, v1, v9
	v_add_u32_e32 v64, v1, v10
	v_add_u32_e32 v65, v1, v7
	v_bitop3_b32 v1, v2, 8, 15 bitop3:8
	v_cmp_gt_u32_e32 vcc, 4, v4
	s_mul_hi_u32 s3, s35, s13
	s_mul_i32 s2, s35, s2
	v_and_b32_e32 v3, 15, v2
	v_add_lshl_u32 v66, v1, v2, 2
	v_cndmask_b32_e64 v1, 4, 0, vcc
	v_cmp_gt_u32_e32 vcc, 2, v4
	s_add_i32 s3, s3, s2
	s_mul_i32 s2, s35, s13
	v_add_lshl_u32 v67, v1, v2, 2
	v_cndmask_b32_e64 v1, 2, 0, vcc
	v_cmp_ne_u32_e32 vcc, 15, v3
	s_add_i32 s40, s59, 0x7fffffff
	s_lshl_b64 s[2:3], s[2:3], 2
	v_add_lshl_u32 v68, v1, v2, 2
	v_addc_co_u32_e32 v1, vcc, 0, v2, vcc
	s_add_u32 s52, s22, s2
	v_lshlrev_b32_e32 v69, 2, v1
	v_lshlrev_b32_e32 v1, 2, v22
	s_addc_u32 s53, s23, s3
	v_add_u32_e32 v70, 0x1200, v1
	v_add_u32_e32 v71, 0x1280, v1
	v_lshlrev_b32_e32 v1, 2, v25
	s_abs_i32 s62, s59
	v_add_u32_e32 v72, 0x1280, v1
	v_add_u32_e32 v73, 0x1300, v1
	;; [unrolled: 1-line block ×5, first 2 shown]
	v_cvt_f32_u32_e32 v1, s62
	v_lshlrev_b32_e32 v5, 2, v2
	s_movk_i32 s2, 0x100
	v_and_b32_e32 v55, 0x1c0, v5
	v_rcp_iflag_f32_e32 v1, v1
	v_mov_b32_e32 v5, 0x1000
	v_cmp_gt_u32_e64 s[8:9], s2, v0
	s_sub_i32 s2, 0, s62
	v_mul_f32_e32 v1, 0x4f7ffffe, v1
	v_cvt_u32_f32_e32 v2, v1
	v_lshl_or_b32 v5, v50, 1, v5
	v_mov_b32_e32 v36, 0
	v_mov_b32_e32 v23, 0x12c0
	v_mul_lo_u32 v3, s2, v2
	v_mad_u32_u24 v6, v50, 30, v5
	v_lshlrev_b32_e32 v34, 1, v0
	v_mov_b32_e32 v35, v36
	v_mul_hi_u32 v3, v2, v3
	v_lshl_or_b32 v54, v50, 2, v23
	v_cmp_le_u32_e64 s[10:11], s41, v51
	v_cmp_gt_u32_e64 s[12:13], s33, v53
	v_cmp_le_u32_e64 s[14:15], s33, v53
	v_cmp_gt_u32_e64 s[16:17], s33, v52
	;; [unrolled: 2-line block ×4, first 2 shown]
	v_lshl_or_b32 v77, v51, 5, v5
	v_lshl_add_u32 v78, v25, 5, v5
	v_add_u32_e32 v79, v6, v8
	v_add_u32_e32 v80, v6, v9
	s_mov_b32 s63, s48
	s_mov_b32 s64, s49
	;; [unrolled: 1-line block ×4, first 2 shown]
	v_or_b32_e32 v1, 64, v0
	v_add_u32_e32 v81, v2, v3
	s_mov_b32 s65, 0x5040100
	s_mov_b32 s66, 0xff800000
	;; [unrolled: 1-line block ×5, first 2 shown]
	v_mov_b32_e32 v14, 0
	v_mov_b32_e32 v15, v36
	;; [unrolled: 1-line block ×16, first 2 shown]
	v_or_b32_e32 v82, 0x1200, v24
	v_or_b32_e32 v83, 0x1280, v24
	v_or_b32_e32 v84, 0x1300, v24
	v_or_b32_e32 v85, 0x1340, v24
	v_or_b32_e32 v86, 0x1240, v24
	v_lshl_add_u64 v[38:39], s[0:1], 0, v[34:35]
	v_lshl_add_u64 v[40:41], s[26:27], 0, v[34:35]
	s_branch .LBB22_15
.LBB22_14:                              ;   in Loop: Header=BB22_15 Depth=1
	s_or_b64 exec, exec, s[0:1]
	v_mul_f32_e32 v14, v14, v48
	v_mul_f32_e32 v2, v2, v48
	v_mul_f32_e32 v6, v6, v48
	v_mul_f32_e32 v10, v10, v48
	v_mul_f32_e32 v15, v15, v35
	v_mul_f32_e32 v16, v16, v49
	v_mul_f32_e32 v17, v17, v87
	v_mul_f32_e32 v3, v3, v35
	v_mul_f32_e32 v4, v4, v49
	v_mul_f32_e32 v5, v5, v87
	v_mul_f32_e32 v7, v7, v35
	v_mul_f32_e32 v8, v8, v49
	v_mul_f32_e32 v9, v9, v87
	v_mul_f32_e32 v11, v11, v35
	v_mul_f32_e32 v12, v12, v49
	v_mul_f32_e32 v13, v13, v87
	v_mfma_f32_16x16x16_bf16 v[14:17], v[18:19], v[20:21], v[14:17]
	s_add_i32 s69, s69, s60
	s_add_i32 s58, s58, 1
	s_sub_i32 s68, s68, s60
	v_mfma_f32_16x16x16_bf16 v[2:5], v[18:19], v[42:43], v[2:5]
	s_cmp_gt_i32 s69, s35
	s_barrier
	v_mfma_f32_16x16x16_bf16 v[6:9], v[18:19], v[44:45], v[6:9]
	v_mfma_f32_16x16x16_bf16 v[10:13], v[18:19], v[46:47], v[10:13]
	s_cbranch_scc1 .LBB22_178
.LBB22_15:                              ; =>This Loop Header: Depth=1
                                        ;     Child Loop BB22_30 Depth 2
                                        ;     Child Loop BB22_36 Depth 2
	s_sub_i32 s0, s61, s69
	s_min_i32 s70, s0, s60
	v_cmp_le_u32_e64 s[2:3], s70, v50
	v_cmp_gt_u32_e64 s[26:27], s70, v50
	v_add_u32_e32 v42, s69, v50
	s_mov_b64 s[56:57], 0
                                        ; implicit-def: $vgpr18
	s_and_saveexec_b64 s[0:1], s[26:27]
	s_xor_b64 s[0:1], exec, s[0:1]
	s_cbranch_execz .LBB22_57
; %bb.16:                               ;   in Loop: Header=BB22_15 Depth=1
	s_andn2_b64 vcc, exec, s[50:51]
	v_mov_b32_e32 v18, v42
	s_cbranch_vccnz .LBB22_23
; %bb.17:                               ;   in Loop: Header=BB22_15 Depth=1
	s_mov_b64 s[56:57], -1
	s_and_b64 vcc, exec, s[44:45]
                                        ; implicit-def: $vgpr18
	s_cbranch_vccz .LBB22_21
; %bb.18:                               ;   in Loop: Header=BB22_15 Depth=1
	v_cmp_le_i32_e32 vcc, s59, v42
	v_mov_b32_e32 v18, v42
	s_and_saveexec_b64 s[56:57], vcc
; %bb.19:                               ;   in Loop: Header=BB22_15 Depth=1
	v_mul_hi_u32 v18, v42, v81
	v_mul_lo_u32 v18, v18, s62
	v_sub_u32_e32 v18, v42, v18
	v_subrev_u32_e32 v19, s62, v18
	v_cmp_le_u32_e32 vcc, s62, v18
	s_nop 1
	v_cndmask_b32_e32 v18, v18, v19, vcc
	v_subrev_u32_e32 v19, s62, v18
	v_cmp_le_u32_e32 vcc, s62, v18
	s_nop 1
	v_cndmask_b32_e32 v18, v18, v19, vcc
; %bb.20:                               ;   in Loop: Header=BB22_15 Depth=1
	s_or_b64 exec, exec, s[56:57]
	s_mov_b64 s[56:57], 0
.LBB22_21:                              ;   in Loop: Header=BB22_15 Depth=1
	s_andn2_b64 vcc, exec, s[56:57]
	s_cbranch_vccnz .LBB22_23
; %bb.22:                               ;   in Loop: Header=BB22_15 Depth=1
	v_and_b32_e32 v18, s40, v42
.LBB22_23:                              ;   in Loop: Header=BB22_15 Depth=1
	s_and_b64 s[56:57], s[30:31], exec
	s_andn2_saveexec_b64 s[0:1], s[0:1]
	s_cbranch_execnz .LBB22_58
.LBB22_24:                              ;   in Loop: Header=BB22_15 Depth=1
	s_or_b64 exec, exec, s[0:1]
	s_and_saveexec_b64 s[0:1], s[56:57]
.LBB22_25:                              ;   in Loop: Header=BB22_15 Depth=1
	ds_write_b32 v54, v18
.LBB22_26:                              ;   in Loop: Header=BB22_15 Depth=1
	s_or_b64 exec, exec, s[0:1]
	s_min_u32 s71, s70, 16
	s_lshl_b32 s72, s71, 6
	v_cmp_gt_u32_e32 vcc, s72, v0
	s_waitcnt lgkmcnt(0)
	s_barrier
	s_and_saveexec_b64 s[0:1], vcc
	s_cbranch_execz .LBB22_37
; %bb.27:                               ;   in Loop: Header=BB22_15 Depth=1
	s_mul_i32 s56, s60, s58
	s_sub_i32 s56, s61, s56
	s_min_i32 s73, s60, s56
	s_mov_b64 s[56:57], -1
	s_cmp_eq_u32 s73, 1
	v_mov_b32_e32 v18, v0
	s_cbranch_scc1 .LBB22_34
; %bb.28:                               ;   in Loop: Header=BB22_15 Depth=1
	s_min_u32 s56, s73, 16
	s_add_i32 s56, s56, -1
	s_and_b32 s56, s56, 0x3ffffff
	s_add_i32 s57, s56, -1
	s_cmp_lt_u32 s57, 2
	v_mov_b64_e32 v[18:19], v[0:1]
	s_cbranch_scc1 .LBB22_31
; %bb.29:                               ;   in Loop: Header=BB22_15 Depth=1
	s_min_i32 s73, s60, s68
	s_min_u32 s73, s73, 16
	s_add_i32 s73, s73, -1
	s_and_b32 s73, s73, 0x3ffffff
	s_add_i32 s73, s73, -1
	s_lshr_b32 s73, s73, 1
	s_add_i32 s73, s73, 1
	s_and_b32 s73, s73, -2
	v_mov_b64_e32 v[18:19], v[0:1]
.LBB22_30:                              ;   Parent Loop BB22_15 Depth=1
                                        ; =>  This Inner Loop Header: Depth=2
	v_lshrrev_b32_e32 v35, 6, v18
	v_add_u32_e32 v37, 0x80, v18
	v_lshl_add_u32 v43, v35, 2, v23
	v_lshrrev_b32_e32 v37, 6, v37
	ds_read2_b32 v[46:47], v43 offset1:1
	v_lshl_add_u32 v43, v37, 2, v23
	ds_read2_b32 v[48:49], v43 offset1:1
	v_mov_b64_e32 v[20:21], s[54:55]
	v_mov_b64_e32 v[44:45], s[46:47]
	s_waitcnt lgkmcnt(1)
	v_ashrrev_i32_e32 v43, 31, v46
	v_ashrrev_i32_e32 v87, 31, v47
	v_mad_u64_u32 v[88:89], s[74:75], s63, v47, v[20:21]
	v_mul_lo_u32 v47, s64, v47
	v_mad_u64_u32 v[90:91], s[74:75], s48, v46, v[44:45]
	v_mul_lo_u32 v46, s49, v46
	v_mul_lo_u32 v87, s63, v87
	;; [unrolled: 1-line block ×3, first 2 shown]
	s_waitcnt lgkmcnt(0)
	v_ashrrev_i32_e32 v92, 31, v48
	v_ashrrev_i32_e32 v93, 31, v49
	v_mad_u64_u32 v[20:21], s[74:75], s63, v49, v[20:21]
	v_mul_lo_u32 v94, s64, v49
	v_mad_u64_u32 v[44:45], s[74:75], s48, v48, v[44:45]
	v_mul_lo_u32 v95, s49, v48
	v_add3_u32 v89, v47, v89, v87
	v_add3_u32 v91, v46, v91, v43
	v_mul_lo_u32 v43, s63, v93
	v_mul_lo_u32 v87, s48, v92
	v_lshl_add_u64 v[46:47], v[38:39], 0, v[90:91]
	v_lshl_add_u64 v[48:49], v[38:39], 0, v[88:89]
	;; [unrolled: 1-line block ×4, first 2 shown]
	v_add3_u32 v21, v94, v21, v43
	v_add3_u32 v45, v95, v45, v87
	global_load_ushort v43, v[46:47], off
	global_load_ushort v87, v[48:49], off
	s_nop 0
	global_load_ushort v90, v[90:91], off
	s_nop 0
	global_load_ushort v88, v[88:89], off
	v_lshl_add_u64 v[46:47], v[38:39], 0, v[44:45]
	v_lshl_add_u64 v[48:49], v[38:39], 0, v[20:21]
	;; [unrolled: 1-line block ×4, first 2 shown]
	global_load_ushort v44, v[44:45], off
	s_nop 0
	global_load_ushort v20, v[20:21], off
	s_nop 0
	global_load_ushort v21, v[46:47], off
	global_load_ushort v45, v[48:49], off
	v_lshlrev_b32_e32 v46, 1, v19
	s_add_i32 s73, s73, -2
	v_and_b32_e32 v48, 0xffffff80, v46
	v_add_u32_e32 v46, 0x100, v46
	v_add_u32_e32 v19, 0x100, v19
	;; [unrolled: 1-line block ×3, first 2 shown]
	v_lshl_add_u32 v47, v35, 7, v34
	s_cmp_lg_u32 s73, 0
	v_lshl_add_u32 v49, v37, 7, v34
	v_and_b32_e32 v46, 0xffffff80, v46
	v_lshl_add_u32 v35, v35, 1, v60
	v_add_u32_e32 v48, v34, v48
	v_lshl_add_u32 v37, v37, 1, v60
	v_add_u32_e32 v46, v34, v46
	s_waitcnt vmcnt(4)
	v_perm_b32 v88, v88, v90, s65
	ds_write_b16 v47, v43
	ds_write_b16 v48, v87
	ds_write_b32 v35, v88
	s_waitcnt vmcnt(2)
	v_perm_b32 v20, v20, v44, s65
	s_waitcnt vmcnt(1)
	ds_write_b16 v49, v21
	s_waitcnt vmcnt(0)
	ds_write_b16 v46, v45
	ds_write_b32 v37, v20
	s_cbranch_scc1 .LBB22_30
.LBB22_31:                              ;   in Loop: Header=BB22_15 Depth=1
	s_bitcmp1_b32 s57, 1
	s_cbranch_scc1 .LBB22_33
; %bb.32:                               ;   in Loop: Header=BB22_15 Depth=1
	v_lshrrev_b32_e32 v18, 6, v18
	v_lshl_add_u32 v20, v18, 2, v23
	ds_read2_b32 v[20:21], v20 offset1:1
	v_mov_b32_e32 v44, s54
	v_mov_b32_e32 v45, s55
	v_mov_b32_e32 v46, s46
	v_mov_b32_e32 v47, s47
	s_waitcnt lgkmcnt(0)
	v_ashrrev_i32_e32 v37, 31, v21
	v_ashrrev_i32_e32 v35, 31, v20
	v_mul_lo_u32 v37, s63, v37
	v_mad_u64_u32 v[44:45], s[74:75], s63, v21, v[44:45]
	v_mul_lo_u32 v21, s64, v21
	v_add3_u32 v45, v21, v45, v37
	v_mul_lo_u32 v21, s48, v35
	v_mad_u64_u32 v[46:47], s[74:75], s48, v20, v[46:47]
	v_mul_lo_u32 v20, s49, v20
	v_add3_u32 v47, v20, v47, v21
	v_lshl_add_u64 v[20:21], v[38:39], 0, v[46:47]
	v_lshl_add_u64 v[46:47], v[40:41], 0, v[46:47]
	;; [unrolled: 1-line block ×4, first 2 shown]
	global_load_ushort v35, v[46:47], off
	global_load_ushort v37, v[44:45], off
	s_nop 0
	global_load_ushort v20, v[20:21], off
	s_nop 0
	global_load_ushort v21, v[48:49], off
	v_lshlrev_b32_e32 v19, 1, v19
	v_lshl_add_u32 v43, v18, 7, v34
	v_and_b32_e32 v19, 0xffffff80, v19
	v_lshl_add_u32 v18, v18, 1, v60
	v_add_u32_e32 v19, v34, v19
	s_waitcnt vmcnt(1)
	ds_write_b16 v43, v20
	s_waitcnt vmcnt(0)
	ds_write_b16 v19, v21
	v_perm_b32 v35, v37, v35, s65
	ds_write_b32 v18, v35
.LBB22_33:                              ;   in Loop: Header=BB22_15 Depth=1
	s_add_i32 s56, s56, 1
	s_and_b32 s57, s56, 0x7fffffe
	s_cmp_lg_u32 s56, s57
	v_lshl_or_b32 v18, s57, 6, v0
	s_cselect_b64 s[56:57], -1, 0
.LBB22_34:                              ;   in Loop: Header=BB22_15 Depth=1
	s_and_b64 vcc, exec, s[56:57]
	s_cbranch_vccz .LBB22_37
; %bb.35:                               ;   in Loop: Header=BB22_15 Depth=1
	v_lshrrev_b32_e32 v21, 6, v18
	v_lshl_add_u32 v19, v21, 7, v34
	v_lshl_add_u32 v20, v21, 1, v60
	;; [unrolled: 1-line block ×3, first 2 shown]
	s_mov_b64 s[56:57], 0
.LBB22_36:                              ;   Parent Loop BB22_15 Depth=1
                                        ; =>  This Inner Loop Header: Depth=2
	ds_read_b32 v35, v21
	v_mov_b64_e32 v[44:45], s[46:47]
	v_add_u32_e32 v18, 64, v18
	v_cmp_le_u32_e32 vcc, s72, v18
	v_add_u32_e32 v21, 4, v21
	s_waitcnt lgkmcnt(0)
	v_ashrrev_i32_e32 v37, 31, v35
	v_mad_u64_u32 v[44:45], s[74:75], s48, v35, v[44:45]
	v_mul_lo_u32 v35, s49, v35
	v_mul_lo_u32 v37, s48, v37
	v_add3_u32 v45, v35, v45, v37
	v_lshl_add_u64 v[46:47], v[38:39], 0, v[44:45]
	v_lshl_add_u64 v[44:45], v[40:41], 0, v[44:45]
	global_load_ushort v35, v[46:47], off
	global_load_ushort v37, v[44:45], off
	s_or_b64 s[56:57], vcc, s[56:57]
	s_waitcnt vmcnt(1)
	ds_write_b16 v19, v35
	s_waitcnt vmcnt(0)
	ds_write_b16 v20, v37
	v_add_u32_e32 v19, 0x80, v19
	v_add_u32_e32 v20, 2, v20
	s_andn2_b64 exec, exec, s[56:57]
	s_cbranch_execnz .LBB22_36
.LBB22_37:                              ;   in Loop: Header=BB22_15 Depth=1
	s_or_b64 exec, exec, s[0:1]
	v_mov_b32_e32 v46, 0
	v_mov_b32_e32 v18, 0
	;; [unrolled: 1-line block ×3, first 2 shown]
	s_waitcnt lgkmcnt(0)
	s_barrier
	s_and_saveexec_b64 s[0:1], s[26:27]
	s_cbranch_execz .LBB22_41
; %bb.38:                               ;   in Loop: Header=BB22_15 Depth=1
	ds_read_u16 v19, v61 offset:4
	ds_read_b32 v18, v61
	s_waitcnt lgkmcnt(1)
	v_and_b32_e32 v19, 0xffff, v19
	s_and_saveexec_b64 s[56:57], s[8:9]
	s_cbranch_execz .LBB22_40
; %bb.39:                               ;   in Loop: Header=BB22_15 Depth=1
	ds_read_u16 v20, v62
	s_waitcnt lgkmcnt(0)
	v_perm_b32 v19, v20, v19, s65
.LBB22_40:                              ;   in Loop: Header=BB22_15 Depth=1
	s_or_b64 exec, exec, s[56:57]
.LBB22_41:                              ;   in Loop: Header=BB22_15 Depth=1
	s_or_b64 exec, exec, s[0:1]
	s_waitcnt lgkmcnt(0)
	v_mfma_f32_16x16x16_bf16 v[18:21], v[28:29], v[18:19], 0
	v_mov_b32_e32 v47, 0
	s_and_saveexec_b64 s[0:1], s[26:27]
	s_cbranch_execz .LBB22_45
; %bb.42:                               ;   in Loop: Header=BB22_15 Depth=1
	ds_read_u16 v35, v61 offset:36
	ds_read_b32 v46, v61 offset:32
	s_waitcnt lgkmcnt(1)
	v_and_b32_e32 v47, 0xffff, v35
	s_and_saveexec_b64 s[56:57], s[8:9]
	s_cbranch_execz .LBB22_44
; %bb.43:                               ;   in Loop: Header=BB22_15 Depth=1
	ds_read_u16 v35, v63
	s_waitcnt lgkmcnt(0)
	v_perm_b32 v47, v35, v47, s65
.LBB22_44:                              ;   in Loop: Header=BB22_15 Depth=1
	s_or_b64 exec, exec, s[56:57]
.LBB22_45:                              ;   in Loop: Header=BB22_15 Depth=1
	s_or_b64 exec, exec, s[0:1]
	s_waitcnt lgkmcnt(0)
	v_mfma_f32_16x16x16_bf16 v[18:21], v[26:27], v[46:47], v[18:21]
	v_mov_b32_e32 v44, 0
	v_mov_b32_e32 v48, 0
	;; [unrolled: 1-line block ×3, first 2 shown]
	s_and_saveexec_b64 s[0:1], s[26:27]
	s_cbranch_execz .LBB22_49
; %bb.46:                               ;   in Loop: Header=BB22_15 Depth=1
	ds_read_u16 v35, v61 offset:68
	ds_read_b32 v48, v61 offset:64
	s_waitcnt lgkmcnt(1)
	v_and_b32_e32 v49, 0xffff, v35
	s_and_saveexec_b64 s[56:57], s[8:9]
	s_cbranch_execz .LBB22_48
; %bb.47:                               ;   in Loop: Header=BB22_15 Depth=1
	ds_read_u16 v35, v64
	s_waitcnt lgkmcnt(0)
	v_perm_b32 v49, v35, v49, s65
.LBB22_48:                              ;   in Loop: Header=BB22_15 Depth=1
	s_or_b64 exec, exec, s[56:57]
.LBB22_49:                              ;   in Loop: Header=BB22_15 Depth=1
	s_or_b64 exec, exec, s[0:1]
	s_waitcnt lgkmcnt(0)
	v_mfma_f32_16x16x16_bf16 v[18:21], v[32:33], v[48:49], v[18:21]
	v_mov_b32_e32 v45, 0
	s_and_saveexec_b64 s[0:1], s[26:27]
	s_cbranch_execz .LBB22_53
; %bb.50:                               ;   in Loop: Header=BB22_15 Depth=1
	ds_read_u16 v35, v61 offset:100
	ds_read_b32 v44, v61 offset:96
	s_waitcnt lgkmcnt(1)
	v_and_b32_e32 v45, 0xffff, v35
	s_and_saveexec_b64 s[56:57], s[8:9]
	s_cbranch_execz .LBB22_52
; %bb.51:                               ;   in Loop: Header=BB22_15 Depth=1
	ds_read_u16 v35, v65
	s_waitcnt lgkmcnt(0)
	v_perm_b32 v45, v35, v45, s65
.LBB22_52:                              ;   in Loop: Header=BB22_15 Depth=1
	s_or_b64 exec, exec, s[56:57]
.LBB22_53:                              ;   in Loop: Header=BB22_15 Depth=1
	s_or_b64 exec, exec, s[0:1]
	s_waitcnt lgkmcnt(0)
	v_mfma_f32_16x16x16_bf16 v[18:21], v[30:31], v[44:45], v[18:21]
	v_mov_b32_e32 v46, 0
	s_and_saveexec_b64 s[0:1], s[26:27]
	s_cbranch_execz .LBB22_55
; %bb.54:                               ;   in Loop: Header=BB22_15 Depth=1
	v_mov_b32_e32 v43, v36
	v_lshl_add_u64 v[42:43], v[42:43], 2, s[52:53]
	global_load_dword v46, v[42:43], off
.LBB22_55:                              ;   in Loop: Header=BB22_15 Depth=1
	s_or_b64 exec, exec, s[0:1]
	s_mov_b64 s[0:1], s[2:3]
                                        ; implicit-def: $vgpr37
	s_and_saveexec_b64 s[56:57], s[26:27]
	s_cbranch_execz .LBB22_59
; %bb.56:                               ;   in Loop: Header=BB22_15 Depth=1
	s_andn2_b64 s[0:1], s[2:3], exec
	s_and_b64 s[72:73], s[10:11], exec
	s_waitcnt vmcnt(0)
	v_add_f32_e32 v37, v46, v18
	s_or_b64 s[0:1], s[0:1], s[72:73]
	s_or_b64 exec, exec, s[56:57]
	s_and_saveexec_b64 s[56:57], s[0:1]
	s_branch .LBB22_60
.LBB22_57:                              ;   in Loop: Header=BB22_15 Depth=1
	s_andn2_saveexec_b64 s[0:1], s[0:1]
	s_cbranch_execz .LBB22_24
.LBB22_58:                              ;   in Loop: Header=BB22_15 Depth=1
	s_andn2_b64 s[56:57], s[56:57], exec
	s_and_b64 s[72:73], s[30:31], exec
	v_mov_b32_e32 v18, 0
	s_or_b64 s[56:57], s[56:57], s[72:73]
	s_or_b64 exec, exec, s[0:1]
	s_and_saveexec_b64 s[0:1], s[56:57]
	s_cbranch_execnz .LBB22_25
	s_branch .LBB22_26
.LBB22_59:                              ;   in Loop: Header=BB22_15 Depth=1
	s_or_b64 exec, exec, s[56:57]
	s_and_saveexec_b64 s[56:57], s[0:1]
.LBB22_60:                              ;   in Loop: Header=BB22_15 Depth=1
	v_mov_b32_e32 v37, 0xff800000
; %bb.61:                               ;   in Loop: Header=BB22_15 Depth=1
	s_or_b64 exec, exec, s[56:57]
	s_mov_b64 s[0:1], s[2:3]
                                        ; implicit-def: $vgpr42
	s_and_saveexec_b64 s[56:57], s[26:27]
	s_cbranch_execz .LBB22_63
; %bb.62:                               ;   in Loop: Header=BB22_15 Depth=1
	s_andn2_b64 s[0:1], s[2:3], exec
	s_and_b64 s[72:73], s[14:15], exec
	s_waitcnt vmcnt(0)
	v_add_f32_e32 v42, v46, v19
	s_or_b64 s[0:1], s[0:1], s[72:73]
	s_or_b64 exec, exec, s[56:57]
	s_and_saveexec_b64 s[56:57], s[0:1]
	s_branch .LBB22_64
.LBB22_63:                              ;   in Loop: Header=BB22_15 Depth=1
	s_or_b64 exec, exec, s[56:57]
	s_and_saveexec_b64 s[56:57], s[0:1]
.LBB22_64:                              ;   in Loop: Header=BB22_15 Depth=1
	v_mov_b32_e32 v42, 0xff800000
; %bb.65:                               ;   in Loop: Header=BB22_15 Depth=1
	s_or_b64 exec, exec, s[56:57]
	s_mov_b64 s[0:1], s[2:3]
                                        ; implicit-def: $vgpr43
	s_and_saveexec_b64 s[56:57], s[26:27]
	s_cbranch_execz .LBB22_67
; %bb.66:                               ;   in Loop: Header=BB22_15 Depth=1
	s_andn2_b64 s[0:1], s[2:3], exec
	s_and_b64 s[72:73], s[18:19], exec
	s_waitcnt vmcnt(0)
	v_add_f32_e32 v43, v46, v20
	s_or_b64 s[0:1], s[0:1], s[72:73]
	s_or_b64 exec, exec, s[56:57]
	s_and_saveexec_b64 s[56:57], s[0:1]
	s_branch .LBB22_68
.LBB22_67:                              ;   in Loop: Header=BB22_15 Depth=1
	s_or_b64 exec, exec, s[56:57]
	s_and_saveexec_b64 s[56:57], s[0:1]
.LBB22_68:                              ;   in Loop: Header=BB22_15 Depth=1
	v_mov_b32_e32 v43, 0xff800000
; %bb.69:                               ;   in Loop: Header=BB22_15 Depth=1
	s_or_b64 exec, exec, s[56:57]
	s_mov_b64 s[0:1], s[2:3]
                                        ; implicit-def: $vgpr35
	s_and_saveexec_b64 s[56:57], s[26:27]
	s_cbranch_execz .LBB22_71
; %bb.70:                               ;   in Loop: Header=BB22_15 Depth=1
	s_andn2_b64 s[0:1], s[2:3], exec
	s_and_b64 s[72:73], s[22:23], exec
	s_waitcnt vmcnt(0)
	v_add_f32_e32 v35, v46, v21
	s_or_b64 s[0:1], s[0:1], s[72:73]
	s_or_b64 exec, exec, s[56:57]
	s_and_saveexec_b64 s[56:57], s[0:1]
	s_cbranch_execnz .LBB22_72
	s_branch .LBB22_73
.LBB22_71:                              ;   in Loop: Header=BB22_15 Depth=1
	s_or_b64 exec, exec, s[56:57]
	s_and_saveexec_b64 s[56:57], s[0:1]
.LBB22_72:                              ;   in Loop: Header=BB22_15 Depth=1
	v_mov_b32_e32 v35, 0xff800000
.LBB22_73:                              ;   in Loop: Header=BB22_15 Depth=1
	s_or_b64 exec, exec, s[56:57]
	ds_bpermute_b32 v18, v66, v37
	v_max_f32_e32 v19, v37, v37
	ds_bpermute_b32 v20, v66, v42
	v_max_f32_e32 v21, v42, v42
	ds_bpermute_b32 v44, v66, v43
	s_waitcnt lgkmcnt(2)
	v_max_f32_e32 v18, v18, v18
	v_max_f32_e32 v18, v19, v18
	ds_bpermute_b32 v19, v67, v18
	s_waitcnt lgkmcnt(2)
	v_max_f32_e32 v20, v20, v20
	v_max_f32_e32 v20, v21, v20
	ds_bpermute_b32 v21, v67, v20
	s_waitcnt vmcnt(0)
	ds_bpermute_b32 v46, v66, v35
	s_waitcnt lgkmcnt(2)
	v_max_f32_e32 v19, v19, v19
	v_max_f32_e32 v18, v18, v19
	ds_bpermute_b32 v19, v68, v18
	s_waitcnt lgkmcnt(2)
	v_max_f32_e32 v21, v21, v21
	v_max_f32_e32 v20, v20, v21
	ds_bpermute_b32 v21, v68, v20
	v_max_f32_e32 v45, v43, v43
	s_waitcnt lgkmcnt(1)
	v_max_f32_e32 v19, v19, v19
	v_max_f32_e32 v18, v18, v19
	ds_bpermute_b32 v19, v69, v18
	v_max_f32_e32 v44, v44, v44
	s_waitcnt lgkmcnt(1)
	v_max_f32_e32 v21, v21, v21
	v_max_f32_e32 v21, v20, v21
	ds_bpermute_b32 v47, v69, v21
	s_waitcnt lgkmcnt(1)
	v_max_f32_e32 v19, v19, v19
	v_max_f32_e32 v18, v18, v19
	ds_bpermute_b32 v20, v55, v18
	v_max_f32_e32 v18, v45, v44
	ds_bpermute_b32 v19, v67, v18
	v_max_f32_e32 v44, v46, v46
	v_max_f32_e32 v45, v35, v35
	v_max_f32_e32 v44, v45, v44
	ds_bpermute_b32 v45, v67, v44
	s_waitcnt lgkmcnt(1)
	v_max_f32_e32 v19, v19, v19
	v_max_f32_e32 v18, v18, v19
	ds_bpermute_b32 v19, v68, v18
	v_max_f32_e32 v46, v47, v47
	s_waitcnt lgkmcnt(1)
	v_max_f32_e32 v45, v45, v45
	v_max_f32_e32 v44, v44, v45
	ds_bpermute_b32 v45, v68, v44
	s_waitcnt lgkmcnt(1)
	v_max_f32_e32 v19, v19, v19
	v_max_f32_e32 v18, v18, v19
	ds_bpermute_b32 v19, v69, v18
	v_max_f32_e32 v21, v21, v46
	s_waitcnt lgkmcnt(1)
	v_max_f32_e32 v45, v45, v45
	v_max_f32_e32 v44, v44, v45
	ds_bpermute_b32 v45, v69, v44
	s_waitcnt lgkmcnt(1)
	v_max_f32_e32 v19, v19, v19
	v_max_f32_e32 v18, v18, v19
	ds_bpermute_b32 v19, v55, v18
	ds_bpermute_b32 v21, v55, v21
	s_waitcnt lgkmcnt(2)
	v_max_f32_e32 v18, v45, v45
	v_max_f32_e32 v18, v44, v18
	ds_bpermute_b32 v18, v55, v18
	s_and_saveexec_b64 s[0:1], s[6:7]
	s_cbranch_execz .LBB22_78
; %bb.74:                               ;   in Loop: Header=BB22_15 Depth=1
	ds_read_b32 v44, v83
	v_max_f32_e32 v20, v20, v20
	s_waitcnt lgkmcnt(0)
	ds_write_b32 v82, v44
	v_max_f32_e32 v44, v44, v44
	v_max_f32_e32 v20, v44, v20
	ds_write_b32 v83, v20
	s_and_saveexec_b64 s[56:57], s[24:25]
	s_cbranch_execz .LBB22_99
; %bb.75:                               ;   in Loop: Header=BB22_15 Depth=1
	ds_read_b32 v20, v71 offset:4
	v_max_f32_e32 v21, v21, v21
	s_waitcnt lgkmcnt(0)
	ds_write_b32 v70, v20 offset:4
	v_max_f32_e32 v20, v20, v20
	v_max_f32_e32 v20, v20, v21
	ds_write_b32 v71, v20 offset:4
	s_or_b64 exec, exec, s[56:57]
	s_and_saveexec_b64 s[56:57], s[24:25]
	s_cbranch_execnz .LBB22_100
.LBB22_76:                              ;   in Loop: Header=BB22_15 Depth=1
	s_or_b64 exec, exec, s[56:57]
	s_and_b64 exec, exec, s[24:25]
	s_cbranch_execz .LBB22_78
.LBB22_77:                              ;   in Loop: Header=BB22_15 Depth=1
	ds_read_b32 v19, v71 offset:12
	v_max_f32_e32 v18, v18, v18
	s_waitcnt lgkmcnt(0)
	ds_write_b32 v70, v19 offset:12
	v_max_f32_e32 v19, v19, v19
	v_max_f32_e32 v18, v19, v18
	ds_write_b32 v71, v18 offset:12
.LBB22_78:                              ;   in Loop: Header=BB22_15 Depth=1
	s_or_b64 exec, exec, s[0:1]
	s_waitcnt lgkmcnt(0)
	v_mov_b32_e32 v18, 0
	v_mov_b32_e32 v19, 0
	s_barrier
	s_and_saveexec_b64 s[0:1], s[26:27]
	s_cbranch_execz .LBB22_80
; %bb.79:                               ;   in Loop: Header=BB22_15 Depth=1
	ds_read_b32 v19, v83
	s_waitcnt lgkmcnt(0)
	v_sub_f32_e32 v20, v37, v19
	v_mul_f32_e32 v20, 0x3fb8aa3b, v20
	v_exp_f32_e32 v20, v20
	v_cmp_lg_f32_e32 vcc, s66, v19
	s_and_b64 vcc, s[4:5], vcc
	s_nop 0
	v_cndmask_b32_e32 v19, 0, v20, vcc
.LBB22_80:                              ;   in Loop: Header=BB22_15 Depth=1
	s_or_b64 exec, exec, s[0:1]
	ds_bpermute_b32 v20, v66, v19
	s_waitcnt lgkmcnt(0)
	v_add_f32_e32 v20, v19, v20
	ds_bpermute_b32 v21, v67, v20
	s_waitcnt lgkmcnt(0)
	v_add_f32_e32 v20, v20, v21
	;; [unrolled: 3-line block ×4, first 2 shown]
	ds_bpermute_b32 v44, v55, v20
	s_and_saveexec_b64 s[0:1], s[26:27]
	s_cbranch_execz .LBB22_82
; %bb.81:                               ;   in Loop: Header=BB22_15 Depth=1
	ds_read_b32 v18, v83 offset:4
	s_waitcnt lgkmcnt(0)
	v_sub_f32_e32 v20, v42, v18
	v_mul_f32_e32 v20, 0x3fb8aa3b, v20
	v_exp_f32_e32 v20, v20
	v_cmp_lg_f32_e32 vcc, s66, v18
	s_and_b64 vcc, s[12:13], vcc
	s_nop 0
	v_cndmask_b32_e32 v18, 0, v20, vcc
.LBB22_82:                              ;   in Loop: Header=BB22_15 Depth=1
	s_or_b64 exec, exec, s[0:1]
	ds_bpermute_b32 v20, v66, v18
	s_waitcnt lgkmcnt(0)
	v_add_f32_e32 v20, v18, v20
	ds_bpermute_b32 v21, v67, v20
	s_waitcnt lgkmcnt(0)
	v_add_f32_e32 v20, v20, v21
	ds_bpermute_b32 v21, v68, v20
	s_waitcnt lgkmcnt(0)
	v_add_f32_e32 v20, v20, v21
	ds_bpermute_b32 v21, v69, v20
	s_waitcnt lgkmcnt(0)
	v_add_f32_e32 v20, v20, v21
	ds_bpermute_b32 v42, v55, v20
	v_mov_b32_e32 v20, 0
	s_and_saveexec_b64 s[0:1], s[26:27]
	s_cbranch_execz .LBB22_84
; %bb.83:                               ;   in Loop: Header=BB22_15 Depth=1
	ds_read_b32 v20, v83 offset:8
	s_waitcnt lgkmcnt(0)
	v_sub_f32_e32 v21, v43, v20
	v_mul_f32_e32 v21, 0x3fb8aa3b, v21
	v_exp_f32_e32 v21, v21
	v_cmp_lg_f32_e32 vcc, s66, v20
	s_and_b64 vcc, s[16:17], vcc
	s_nop 0
	v_cndmask_b32_e32 v20, 0, v21, vcc
.LBB22_84:                              ;   in Loop: Header=BB22_15 Depth=1
	s_or_b64 exec, exec, s[0:1]
	ds_bpermute_b32 v21, v66, v20
	v_mov_b32_e32 v43, 0xff800000
	s_waitcnt lgkmcnt(0)
	v_add_f32_e32 v21, v20, v21
	ds_bpermute_b32 v37, v67, v21
	s_waitcnt lgkmcnt(0)
	v_add_f32_e32 v21, v21, v37
	ds_bpermute_b32 v37, v68, v21
	s_waitcnt lgkmcnt(0)
	v_add_f32_e32 v21, v21, v37
	ds_bpermute_b32 v37, v69, v21
	s_waitcnt lgkmcnt(0)
	v_add_f32_e32 v21, v21, v37
	ds_bpermute_b32 v37, v55, v21
	s_and_saveexec_b64 s[0:1], s[24:25]
; %bb.85:                               ;   in Loop: Header=BB22_15 Depth=1
	ds_read_b32 v43, v72
; %bb.86:                               ;   in Loop: Header=BB22_15 Depth=1
	s_or_b64 exec, exec, s[0:1]
	v_mov_b32_e32 v21, 0
	s_and_saveexec_b64 s[0:1], s[26:27]
	s_cbranch_execz .LBB22_88
; %bb.87:                               ;   in Loop: Header=BB22_15 Depth=1
	s_waitcnt lgkmcnt(0)
	v_sub_f32_e32 v21, v35, v43
	v_mul_f32_e32 v21, 0x3fb8aa3b, v21
	v_exp_f32_e32 v21, v21
	v_cmp_lg_f32_e32 vcc, s66, v43
	s_and_b64 vcc, s[20:21], vcc
	s_nop 0
	v_cndmask_b32_e32 v21, 0, v21, vcc
.LBB22_88:                              ;   in Loop: Header=BB22_15 Depth=1
	s_or_b64 exec, exec, s[0:1]
	ds_bpermute_b32 v35, v66, v21
	s_waitcnt lgkmcnt(0)
	v_add_f32_e32 v35, v21, v35
	ds_bpermute_b32 v43, v67, v35
	s_waitcnt lgkmcnt(0)
	v_add_f32_e32 v35, v35, v43
	;; [unrolled: 3-line block ×4, first 2 shown]
	ds_bpermute_b32 v35, v55, v35
	s_and_saveexec_b64 s[26:27], s[6:7]
	s_cbranch_execz .LBB22_117
; %bb.89:                               ;   in Loop: Header=BB22_15 Depth=1
	s_and_saveexec_b64 s[0:1], s[10:11]
	s_xor_b64 s[0:1], exec, s[0:1]
	s_cbranch_execz .LBB22_101
; %bb.90:                               ;   in Loop: Header=BB22_15 Depth=1
	ds_write_b32 v85, v36
	ds_write_b32 v84, v36
                                        ; implicit-def: $vgpr44
	s_andn2_saveexec_b64 s[56:57], s[0:1]
	s_cbranch_execnz .LBB22_102
.LBB22_91:                              ;   in Loop: Header=BB22_15 Depth=1
	s_or_b64 exec, exec, s[56:57]
	s_and_saveexec_b64 s[0:1], s[14:15]
	s_xor_b64 s[0:1], exec, s[0:1]
	s_cbranch_execz .LBB22_105
.LBB22_92:                              ;   in Loop: Header=BB22_15 Depth=1
	ds_write_b32 v85, v36 offset:4
	ds_write_b32 v84, v36 offset:4
                                        ; implicit-def: $vgpr42
	s_andn2_saveexec_b64 s[56:57], s[0:1]
	s_cbranch_execnz .LBB22_106
.LBB22_93:                              ;   in Loop: Header=BB22_15 Depth=1
	s_or_b64 exec, exec, s[56:57]
	s_and_saveexec_b64 s[0:1], s[18:19]
	s_xor_b64 s[0:1], exec, s[0:1]
	s_cbranch_execz .LBB22_109
.LBB22_94:                              ;   in Loop: Header=BB22_15 Depth=1
	ds_write_b32 v85, v36 offset:8
	ds_write_b32 v84, v36 offset:8
                                        ; implicit-def: $vgpr37
	s_andn2_saveexec_b64 s[56:57], s[0:1]
	s_cbranch_execnz .LBB22_110
.LBB22_95:                              ;   in Loop: Header=BB22_15 Depth=1
	s_or_b64 exec, exec, s[56:57]
	s_and_saveexec_b64 s[0:1], s[22:23]
	s_xor_b64 s[0:1], exec, s[0:1]
	s_cbranch_execz .LBB22_113
.LBB22_96:                              ;   in Loop: Header=BB22_15 Depth=1
	s_and_saveexec_b64 s[56:57], s[24:25]
	s_cbranch_execz .LBB22_98
; %bb.97:                               ;   in Loop: Header=BB22_15 Depth=1
	ds_write_b32 v74, v36
	ds_write_b32 v73, v36
.LBB22_98:                              ;   in Loop: Header=BB22_15 Depth=1
	s_or_b64 exec, exec, s[56:57]
                                        ; implicit-def: $vgpr35
	s_andn2_saveexec_b64 s[0:1], s[0:1]
	s_cbranch_execz .LBB22_117
	s_branch .LBB22_114
.LBB22_99:                              ;   in Loop: Header=BB22_15 Depth=1
	s_or_b64 exec, exec, s[56:57]
	s_and_saveexec_b64 s[56:57], s[24:25]
	s_cbranch_execz .LBB22_76
.LBB22_100:                             ;   in Loop: Header=BB22_15 Depth=1
	ds_read_b32 v20, v71 offset:8
	v_max_f32_e32 v19, v19, v19
	s_waitcnt lgkmcnt(0)
	ds_write_b32 v70, v20 offset:8
	v_max_f32_e32 v20, v20, v20
	v_max_f32_e32 v19, v20, v19
	ds_write_b32 v71, v19 offset:8
	s_or_b64 exec, exec, s[56:57]
	s_and_b64 exec, exec, s[24:25]
	s_cbranch_execnz .LBB22_77
	s_branch .LBB22_78
.LBB22_101:                             ;   in Loop: Header=BB22_15 Depth=1
	s_andn2_saveexec_b64 s[56:57], s[0:1]
	s_cbranch_execz .LBB22_91
.LBB22_102:                             ;   in Loop: Header=BB22_15 Depth=1
	ds_read_b32 v46, v82
	ds_read_b32 v43, v86
	v_mov_b32_e32 v45, 0
	s_waitcnt lgkmcnt(1)
	v_cmp_neq_f32_e32 vcc, s66, v46
	s_and_saveexec_b64 s[0:1], vcc
	s_cbranch_execz .LBB22_104
; %bb.103:                              ;   in Loop: Header=BB22_15 Depth=1
	ds_read_b32 v45, v83
	s_waitcnt lgkmcnt(0)
	v_sub_f32_e32 v45, v46, v45
	v_mul_f32_e32 v45, 0x3fb8aa3b, v45
	v_exp_f32_e32 v45, v45
.LBB22_104:                             ;   in Loop: Header=BB22_15 Depth=1
	s_or_b64 exec, exec, s[0:1]
	s_waitcnt lgkmcnt(0)
	v_mul_f32_e32 v46, v43, v45
	v_fmac_f32_e32 v44, v43, v45
	v_div_scale_f32 v43, s[0:1], v44, v44, v46
	v_rcp_f32_e32 v45, v43
	s_nop 0
	v_fma_f32 v47, -v43, v45, 1.0
	v_fmac_f32_e32 v45, v47, v45
	v_div_scale_f32 v47, vcc, v46, v44, v46
	v_mul_f32_e32 v48, v47, v45
	v_fma_f32 v49, -v43, v48, v47
	v_fmac_f32_e32 v48, v49, v45
	v_fma_f32 v43, -v43, v48, v47
	v_div_fmas_f32 v43, v43, v45, v48
	v_div_scale_f32 v45, s[0:1], v44, v44, 1.0
	v_rcp_f32_e32 v47, v45
	v_div_fixup_f32 v43, v43, v44, v46
	v_cmp_lt_f32_e64 s[0:1], 0, v44
	v_fma_f32 v46, -v45, v47, 1.0
	v_fmac_f32_e32 v47, v46, v47
	v_div_scale_f32 v46, vcc, 1.0, v44, 1.0
	v_mul_f32_e32 v48, v46, v47
	v_fma_f32 v49, -v45, v48, v46
	v_fmac_f32_e32 v48, v49, v47
	v_fma_f32 v45, -v45, v48, v46
	v_div_fmas_f32 v45, v45, v47, v48
	v_cndmask_b32_e64 v43, 0, v43, s[0:1]
	v_div_fixup_f32 v45, v45, v44, 1.0
	v_cndmask_b32_e64 v45, 0, v45, s[0:1]
	ds_write_b32 v85, v43
	ds_write_b32 v84, v45
	;; [unrolled: 1-line block ×3, first 2 shown]
	s_or_b64 exec, exec, s[56:57]
	s_and_saveexec_b64 s[0:1], s[14:15]
	s_xor_b64 s[0:1], exec, s[0:1]
	s_cbranch_execnz .LBB22_92
.LBB22_105:                             ;   in Loop: Header=BB22_15 Depth=1
	s_andn2_saveexec_b64 s[56:57], s[0:1]
	s_cbranch_execz .LBB22_93
.LBB22_106:                             ;   in Loop: Header=BB22_15 Depth=1
	ds_read_b32 v45, v82 offset:4
	ds_read_b32 v43, v86 offset:4
	v_mov_b32_e32 v44, 0
	s_waitcnt lgkmcnt(1)
	v_cmp_neq_f32_e32 vcc, s66, v45
	s_and_saveexec_b64 s[0:1], vcc
	s_cbranch_execz .LBB22_108
; %bb.107:                              ;   in Loop: Header=BB22_15 Depth=1
	ds_read_b32 v44, v83 offset:4
	s_waitcnt lgkmcnt(0)
	v_sub_f32_e32 v44, v45, v44
	v_mul_f32_e32 v44, 0x3fb8aa3b, v44
	v_exp_f32_e32 v44, v44
.LBB22_108:                             ;   in Loop: Header=BB22_15 Depth=1
	s_or_b64 exec, exec, s[0:1]
	s_waitcnt lgkmcnt(0)
	v_mul_f32_e32 v45, v43, v44
	v_fmac_f32_e32 v42, v43, v44
	v_div_scale_f32 v43, s[0:1], v42, v42, v45
	v_rcp_f32_e32 v44, v43
	s_nop 0
	v_fma_f32 v46, -v43, v44, 1.0
	v_fmac_f32_e32 v44, v46, v44
	v_div_scale_f32 v46, vcc, v45, v42, v45
	v_mul_f32_e32 v47, v46, v44
	v_fma_f32 v48, -v43, v47, v46
	v_fmac_f32_e32 v47, v48, v44
	v_fma_f32 v43, -v43, v47, v46
	v_div_fmas_f32 v43, v43, v44, v47
	v_div_scale_f32 v44, s[0:1], v42, v42, 1.0
	v_rcp_f32_e32 v46, v44
	v_div_fixup_f32 v43, v43, v42, v45
	v_cmp_lt_f32_e64 s[0:1], 0, v42
	v_fma_f32 v45, -v44, v46, 1.0
	v_fmac_f32_e32 v46, v45, v46
	v_div_scale_f32 v45, vcc, 1.0, v42, 1.0
	v_mul_f32_e32 v47, v45, v46
	v_fma_f32 v48, -v44, v47, v45
	v_fmac_f32_e32 v47, v48, v46
	v_fma_f32 v44, -v44, v47, v45
	v_div_fmas_f32 v44, v44, v46, v47
	v_cndmask_b32_e64 v43, 0, v43, s[0:1]
	v_div_fixup_f32 v44, v44, v42, 1.0
	v_cndmask_b32_e64 v44, 0, v44, s[0:1]
	ds_write_b32 v85, v43 offset:4
	ds_write_b32 v84, v44 offset:4
	ds_write_b32 v86, v42 offset:4
	s_or_b64 exec, exec, s[56:57]
	s_and_saveexec_b64 s[0:1], s[18:19]
	s_xor_b64 s[0:1], exec, s[0:1]
	s_cbranch_execnz .LBB22_94
.LBB22_109:                             ;   in Loop: Header=BB22_15 Depth=1
	s_andn2_saveexec_b64 s[56:57], s[0:1]
	s_cbranch_execz .LBB22_95
.LBB22_110:                             ;   in Loop: Header=BB22_15 Depth=1
	ds_read_b32 v44, v82 offset:8
	ds_read_b32 v42, v86 offset:8
	v_mov_b32_e32 v43, 0
	s_waitcnt lgkmcnt(1)
	v_cmp_neq_f32_e32 vcc, s66, v44
	s_and_saveexec_b64 s[0:1], vcc
	s_cbranch_execz .LBB22_112
; %bb.111:                              ;   in Loop: Header=BB22_15 Depth=1
	ds_read_b32 v43, v83 offset:8
	s_waitcnt lgkmcnt(0)
	v_sub_f32_e32 v43, v44, v43
	v_mul_f32_e32 v43, 0x3fb8aa3b, v43
	v_exp_f32_e32 v43, v43
.LBB22_112:                             ;   in Loop: Header=BB22_15 Depth=1
	s_or_b64 exec, exec, s[0:1]
	s_waitcnt lgkmcnt(0)
	v_mul_f32_e32 v44, v42, v43
	v_fmac_f32_e32 v37, v42, v43
	v_div_scale_f32 v42, s[0:1], v37, v37, v44
	v_rcp_f32_e32 v43, v42
	s_nop 0
	v_fma_f32 v45, -v42, v43, 1.0
	v_fmac_f32_e32 v43, v45, v43
	v_div_scale_f32 v45, vcc, v44, v37, v44
	v_mul_f32_e32 v46, v45, v43
	v_fma_f32 v47, -v42, v46, v45
	v_fmac_f32_e32 v46, v47, v43
	v_fma_f32 v42, -v42, v46, v45
	v_div_fmas_f32 v42, v42, v43, v46
	v_div_scale_f32 v43, s[0:1], v37, v37, 1.0
	v_rcp_f32_e32 v45, v43
	v_div_fixup_f32 v42, v42, v37, v44
	v_cmp_lt_f32_e64 s[0:1], 0, v37
	v_fma_f32 v44, -v43, v45, 1.0
	v_fmac_f32_e32 v45, v44, v45
	v_div_scale_f32 v44, vcc, 1.0, v37, 1.0
	v_mul_f32_e32 v46, v44, v45
	v_fma_f32 v47, -v43, v46, v44
	v_fmac_f32_e32 v46, v47, v45
	v_fma_f32 v43, -v43, v46, v44
	v_div_fmas_f32 v43, v43, v45, v46
	v_cndmask_b32_e64 v42, 0, v42, s[0:1]
	v_div_fixup_f32 v43, v43, v37, 1.0
	v_cndmask_b32_e64 v43, 0, v43, s[0:1]
	ds_write_b32 v85, v42 offset:8
	ds_write_b32 v84, v43 offset:8
	;; [unrolled: 1-line block ×3, first 2 shown]
	s_or_b64 exec, exec, s[56:57]
	s_and_saveexec_b64 s[0:1], s[22:23]
	s_xor_b64 s[0:1], exec, s[0:1]
	s_cbranch_execnz .LBB22_96
.LBB22_113:                             ;   in Loop: Header=BB22_15 Depth=1
	s_andn2_saveexec_b64 s[0:1], s[0:1]
	s_cbranch_execz .LBB22_117
.LBB22_114:                             ;   in Loop: Header=BB22_15 Depth=1
	ds_read_b32 v43, v75
	ds_read_b32 v37, v76
	v_mov_b32_e32 v42, 0
	s_waitcnt lgkmcnt(1)
	v_cmp_neq_f32_e32 vcc, s66, v43
	s_and_saveexec_b64 s[0:1], vcc
	s_cbranch_execz .LBB22_116
; %bb.115:                              ;   in Loop: Header=BB22_15 Depth=1
	ds_read_b32 v42, v72
	s_waitcnt lgkmcnt(0)
	v_sub_f32_e32 v42, v43, v42
	v_mul_f32_e32 v42, 0x3fb8aa3b, v42
	v_exp_f32_e32 v42, v42
.LBB22_116:                             ;   in Loop: Header=BB22_15 Depth=1
	s_or_b64 exec, exec, s[0:1]
	s_waitcnt lgkmcnt(0)
	v_mul_f32_e32 v43, v37, v42
	v_fmac_f32_e32 v35, v37, v42
	v_div_scale_f32 v37, s[0:1], v35, v35, v43
	v_rcp_f32_e32 v42, v37
	s_nop 0
	v_fma_f32 v44, -v37, v42, 1.0
	v_fmac_f32_e32 v42, v44, v42
	v_div_scale_f32 v44, vcc, v43, v35, v43
	v_mul_f32_e32 v45, v44, v42
	v_fma_f32 v46, -v37, v45, v44
	v_fmac_f32_e32 v45, v46, v42
	v_fma_f32 v37, -v37, v45, v44
	v_div_fmas_f32 v37, v37, v42, v45
	v_div_scale_f32 v42, s[0:1], v35, v35, 1.0
	v_rcp_f32_e32 v44, v42
	v_div_fixup_f32 v37, v37, v35, v43
	v_cmp_lt_f32_e64 s[0:1], 0, v35
	v_fma_f32 v43, -v42, v44, 1.0
	v_fmac_f32_e32 v44, v43, v44
	v_div_scale_f32 v43, vcc, 1.0, v35, 1.0
	v_mul_f32_e32 v45, v43, v44
	v_fma_f32 v46, -v42, v45, v43
	v_fmac_f32_e32 v45, v46, v44
	v_fma_f32 v42, -v42, v45, v43
	v_div_fmas_f32 v42, v42, v44, v45
	v_cndmask_b32_e64 v37, 0, v37, s[0:1]
	v_div_fixup_f32 v42, v42, v35, 1.0
	v_cndmask_b32_e64 v42, 0, v42, s[0:1]
	ds_write_b32 v74, v37
	ds_write_b32 v73, v42
	;; [unrolled: 1-line block ×3, first 2 shown]
.LBB22_117:                             ;   in Loop: Header=BB22_15 Depth=1
	s_or_b64 exec, exec, s[26:27]
	s_waitcnt lgkmcnt(0)
	v_mov_b32_e32 v35, 0
	v_mov_b32_e32 v48, 0
	s_barrier
	s_and_saveexec_b64 s[0:1], s[4:5]
; %bb.118:                              ;   in Loop: Header=BB22_15 Depth=1
	ds_read_b32 v48, v85
; %bb.119:                              ;   in Loop: Header=BB22_15 Depth=1
	s_or_b64 exec, exec, s[0:1]
	s_nor_b64 s[26:27], s[2:3], s[10:11]
	s_and_saveexec_b64 s[0:1], s[26:27]
	s_cbranch_execz .LBB22_121
; %bb.120:                              ;   in Loop: Header=BB22_15 Depth=1
	ds_read_b32 v35, v84
	s_waitcnt lgkmcnt(0)
	v_mul_f32_e32 v19, v19, v35
	v_cvt_pk_bf16_f32 v35, v19, s0
.LBB22_121:                             ;   in Loop: Header=BB22_15 Depth=1
	s_or_b64 exec, exec, s[0:1]
	ds_write_b16 v77, v35
	v_mov_b32_e32 v19, 0
	v_mov_b32_e32 v35, 0
	s_and_saveexec_b64 s[0:1], s[12:13]
; %bb.122:                              ;   in Loop: Header=BB22_15 Depth=1
	ds_read_b32 v35, v85 offset:4
; %bb.123:                              ;   in Loop: Header=BB22_15 Depth=1
	s_or_b64 exec, exec, s[0:1]
	s_nor_b64 s[26:27], s[2:3], s[14:15]
	s_and_saveexec_b64 s[0:1], s[26:27]
	s_cbranch_execz .LBB22_125
; %bb.124:                              ;   in Loop: Header=BB22_15 Depth=1
	ds_read_b32 v19, v84 offset:4
	s_waitcnt lgkmcnt(0)
	v_mul_f32_e32 v18, v18, v19
	v_cvt_pk_bf16_f32 v19, v18, s0
.LBB22_125:                             ;   in Loop: Header=BB22_15 Depth=1
	s_or_b64 exec, exec, s[0:1]
	v_mov_b32_e32 v18, 0
	v_mov_b32_e32 v49, 0
	ds_write_b16 v77, v19 offset:32
	s_and_saveexec_b64 s[0:1], s[16:17]
; %bb.126:                              ;   in Loop: Header=BB22_15 Depth=1
	ds_read_b32 v49, v85 offset:8
; %bb.127:                              ;   in Loop: Header=BB22_15 Depth=1
	s_or_b64 exec, exec, s[0:1]
	s_nor_b64 s[26:27], s[2:3], s[18:19]
	s_and_saveexec_b64 s[0:1], s[26:27]
	s_cbranch_execz .LBB22_129
; %bb.128:                              ;   in Loop: Header=BB22_15 Depth=1
	ds_read_b32 v18, v84 offset:8
	s_waitcnt lgkmcnt(0)
	v_mul_f32_e32 v18, v20, v18
	v_cvt_pk_bf16_f32 v18, v18, s0
.LBB22_129:                             ;   in Loop: Header=BB22_15 Depth=1
	s_or_b64 exec, exec, s[0:1]
	ds_write_b16 v77, v18 offset:64
	v_mov_b32_e32 v18, 0
	v_mov_b32_e32 v87, 0
	s_and_saveexec_b64 s[0:1], s[20:21]
	s_cbranch_execz .LBB22_138
; %bb.130:                              ;   in Loop: Header=BB22_15 Depth=1
	ds_read_b32 v87, v74
	s_or_b64 exec, exec, s[0:1]
	s_nor_b64 s[2:3], s[2:3], s[22:23]
	s_and_saveexec_b64 s[0:1], s[2:3]
	s_cbranch_execnz .LBB22_139
.LBB22_131:                             ;   in Loop: Header=BB22_15 Depth=1
	s_or_b64 exec, exec, s[0:1]
	s_and_saveexec_b64 s[0:1], s[24:25]
.LBB22_132:                             ;   in Loop: Header=BB22_15 Depth=1
	ds_write_b16 v78, v18
.LBB22_133:                             ;   in Loop: Header=BB22_15 Depth=1
	s_or_b64 exec, exec, s[0:1]
	v_mov_b32_e32 v37, v36
	v_mov_b64_e32 v[18:19], v[36:37]
	s_waitcnt lgkmcnt(0)
	s_barrier
	s_and_saveexec_b64 s[0:1], s[28:29]
	s_cbranch_execz .LBB22_145
; %bb.134:                              ;   in Loop: Header=BB22_15 Depth=1
	v_mov_b32_e32 v37, v36
	v_cmp_gt_u32_e32 vcc, s70, v51
	v_mov_b64_e32 v[18:19], v[36:37]
	s_and_saveexec_b64 s[2:3], vcc
	s_cbranch_execz .LBB22_140
; %bb.135:                              ;   in Loop: Header=BB22_15 Depth=1
	ds_read_u16 v18, v79
	v_mov_b32_e32 v19, v36
	s_waitcnt lgkmcnt(0)
	v_and_b32_e32 v18, 0xffff, v18
	s_or_b64 exec, exec, s[2:3]
	v_cmp_gt_u32_e32 vcc, s71, v53
	s_and_saveexec_b64 s[2:3], vcc
	s_cbranch_execnz .LBB22_141
.LBB22_136:                             ;   in Loop: Header=BB22_15 Depth=1
	s_or_b64 exec, exec, s[2:3]
	v_cmp_gt_u32_e32 vcc, s71, v52
	s_and_saveexec_b64 s[2:3], vcc
	s_cbranch_execz .LBB22_142
.LBB22_137:                             ;   in Loop: Header=BB22_15 Depth=1
	ds_read_u16 v20, v79 offset:4
	s_waitcnt lgkmcnt(0)
	v_bfi_b32 v19, s67, v20, v19
	s_or_b64 exec, exec, s[2:3]
	v_cmp_gt_u32_e32 vcc, s71, v25
	s_and_saveexec_b64 s[2:3], vcc
	s_cbranch_execnz .LBB22_143
	s_branch .LBB22_144
.LBB22_138:                             ;   in Loop: Header=BB22_15 Depth=1
	s_or_b64 exec, exec, s[0:1]
	s_nor_b64 s[2:3], s[2:3], s[22:23]
	s_and_saveexec_b64 s[0:1], s[2:3]
	s_cbranch_execz .LBB22_131
.LBB22_139:                             ;   in Loop: Header=BB22_15 Depth=1
	ds_read_b32 v18, v73
	s_waitcnt lgkmcnt(0)
	v_mul_f32_e32 v18, v21, v18
	v_cvt_pk_bf16_f32 v18, v18, s0
	s_or_b64 exec, exec, s[0:1]
	s_and_saveexec_b64 s[0:1], s[24:25]
	s_cbranch_execnz .LBB22_132
	s_branch .LBB22_133
.LBB22_140:                             ;   in Loop: Header=BB22_15 Depth=1
	s_or_b64 exec, exec, s[2:3]
	v_cmp_gt_u32_e32 vcc, s71, v53
	s_and_saveexec_b64 s[2:3], vcc
	s_cbranch_execz .LBB22_136
.LBB22_141:                             ;   in Loop: Header=BB22_15 Depth=1
	ds_read_u16 v20, v79 offset:2
	s_waitcnt lgkmcnt(0)
	v_perm_b32 v18, v20, v18, s65
	s_or_b64 exec, exec, s[2:3]
	v_cmp_gt_u32_e32 vcc, s71, v52
	s_and_saveexec_b64 s[2:3], vcc
	s_cbranch_execnz .LBB22_137
.LBB22_142:                             ;   in Loop: Header=BB22_15 Depth=1
	s_or_b64 exec, exec, s[2:3]
	v_cmp_gt_u32_e32 vcc, s71, v25
	s_and_saveexec_b64 s[2:3], vcc
	s_cbranch_execz .LBB22_144
.LBB22_143:                             ;   in Loop: Header=BB22_15 Depth=1
	ds_read_u16 v20, v80
	s_waitcnt lgkmcnt(0)
	v_perm_b32 v19, v20, v19, s65
.LBB22_144:                             ;   in Loop: Header=BB22_15 Depth=1
	s_or_b64 exec, exec, s[2:3]
.LBB22_145:                             ;   in Loop: Header=BB22_15 Depth=1
	s_or_b64 exec, exec, s[0:1]
	v_mov_b32_e32 v37, v36
	v_cmp_gt_u32_e32 vcc, s70, v51
	v_mov_b64_e32 v[20:21], v[36:37]
	s_and_saveexec_b64 s[0:1], vcc
	s_cbranch_execz .LBB22_149
; %bb.146:                              ;   in Loop: Header=BB22_15 Depth=1
	ds_read_u16 v20, v56
	v_mov_b32_e32 v21, v36
	s_waitcnt lgkmcnt(0)
	v_and_b32_e32 v20, 0xffff, v20
	s_or_b64 exec, exec, s[0:1]
	v_cmp_gt_u32_e64 s[0:1], s71, v53
	s_and_saveexec_b64 s[2:3], s[0:1]
	s_cbranch_execnz .LBB22_150
.LBB22_147:                             ;   in Loop: Header=BB22_15 Depth=1
	s_or_b64 exec, exec, s[2:3]
	v_cmp_gt_u32_e64 s[2:3], s71, v52
	s_and_saveexec_b64 s[26:27], s[2:3]
	s_cbranch_execz .LBB22_151
.LBB22_148:                             ;   in Loop: Header=BB22_15 Depth=1
	ds_read_u16 v37, v56 offset:4
	s_waitcnt lgkmcnt(0)
	v_bfi_b32 v21, s67, v37, v21
	s_or_b64 exec, exec, s[26:27]
	v_cmp_gt_u32_e64 s[26:27], s71, v25
	s_and_saveexec_b64 s[56:57], s[26:27]
	s_cbranch_execnz .LBB22_152
	s_branch .LBB22_153
.LBB22_149:                             ;   in Loop: Header=BB22_15 Depth=1
	s_or_b64 exec, exec, s[0:1]
	v_cmp_gt_u32_e64 s[0:1], s71, v53
	s_and_saveexec_b64 s[2:3], s[0:1]
	s_cbranch_execz .LBB22_147
.LBB22_150:                             ;   in Loop: Header=BB22_15 Depth=1
	ds_read_u16 v37, v56 offset:2
	s_waitcnt lgkmcnt(0)
	v_perm_b32 v20, v37, v20, s65
	s_or_b64 exec, exec, s[2:3]
	v_cmp_gt_u32_e64 s[2:3], s71, v52
	s_and_saveexec_b64 s[26:27], s[2:3]
	s_cbranch_execnz .LBB22_148
.LBB22_151:                             ;   in Loop: Header=BB22_15 Depth=1
	s_or_b64 exec, exec, s[26:27]
	v_cmp_gt_u32_e64 s[26:27], s71, v25
	s_and_saveexec_b64 s[56:57], s[26:27]
	s_cbranch_execz .LBB22_153
.LBB22_152:                             ;   in Loop: Header=BB22_15 Depth=1
	ds_read_u16 v37, v57
	s_waitcnt lgkmcnt(0)
	v_perm_b32 v21, v37, v21, s65
.LBB22_153:                             ;   in Loop: Header=BB22_15 Depth=1
	s_or_b64 exec, exec, s[56:57]
	v_mov_b32_e32 v37, v36
	v_mov_b64_e32 v[42:43], v[36:37]
	s_and_saveexec_b64 s[56:57], vcc
	s_cbranch_execz .LBB22_157
; %bb.154:                              ;   in Loop: Header=BB22_15 Depth=1
	ds_read_u16 v37, v56 offset:512
	v_mov_b32_e32 v43, v36
	s_waitcnt lgkmcnt(0)
	v_and_b32_e32 v42, 0xffff, v37
	s_or_b64 exec, exec, s[56:57]
	s_and_saveexec_b64 s[56:57], s[0:1]
	s_cbranch_execnz .LBB22_158
.LBB22_155:                             ;   in Loop: Header=BB22_15 Depth=1
	s_or_b64 exec, exec, s[56:57]
	s_and_saveexec_b64 s[56:57], s[2:3]
	s_cbranch_execz .LBB22_159
.LBB22_156:                             ;   in Loop: Header=BB22_15 Depth=1
	ds_read_u16 v37, v56 offset:516
	s_waitcnt lgkmcnt(0)
	v_bfi_b32 v43, s67, v37, v43
	s_or_b64 exec, exec, s[56:57]
	s_and_saveexec_b64 s[56:57], s[26:27]
	s_cbranch_execnz .LBB22_160
	s_branch .LBB22_161
.LBB22_157:                             ;   in Loop: Header=BB22_15 Depth=1
	s_or_b64 exec, exec, s[56:57]
	s_and_saveexec_b64 s[56:57], s[0:1]
	s_cbranch_execz .LBB22_155
.LBB22_158:                             ;   in Loop: Header=BB22_15 Depth=1
	ds_read_u16 v37, v56 offset:514
	s_waitcnt lgkmcnt(0)
	v_perm_b32 v42, v37, v42, s65
	s_or_b64 exec, exec, s[56:57]
	s_and_saveexec_b64 s[56:57], s[2:3]
	s_cbranch_execnz .LBB22_156
.LBB22_159:                             ;   in Loop: Header=BB22_15 Depth=1
	s_or_b64 exec, exec, s[56:57]
	s_and_saveexec_b64 s[56:57], s[26:27]
	s_cbranch_execz .LBB22_161
.LBB22_160:                             ;   in Loop: Header=BB22_15 Depth=1
	ds_read_u16 v37, v57 offset:512
	s_waitcnt lgkmcnt(0)
	v_perm_b32 v43, v37, v43, s65
.LBB22_161:                             ;   in Loop: Header=BB22_15 Depth=1
	s_or_b64 exec, exec, s[56:57]
	v_mov_b32_e32 v37, v36
	v_mov_b64_e32 v[44:45], v[36:37]
	s_and_saveexec_b64 s[56:57], vcc
	s_cbranch_execz .LBB22_165
; %bb.162:                              ;   in Loop: Header=BB22_15 Depth=1
	ds_read_u16 v37, v56 offset:1024
	v_mov_b32_e32 v45, v36
	s_waitcnt lgkmcnt(0)
	v_and_b32_e32 v44, 0xffff, v37
	s_or_b64 exec, exec, s[56:57]
	s_and_saveexec_b64 s[56:57], s[0:1]
	s_cbranch_execnz .LBB22_166
.LBB22_163:                             ;   in Loop: Header=BB22_15 Depth=1
	s_or_b64 exec, exec, s[56:57]
	s_and_saveexec_b64 s[56:57], s[2:3]
	s_cbranch_execz .LBB22_167
.LBB22_164:                             ;   in Loop: Header=BB22_15 Depth=1
	ds_read_u16 v37, v56 offset:1028
	s_waitcnt lgkmcnt(0)
	v_bfi_b32 v45, s67, v37, v45
	s_or_b64 exec, exec, s[56:57]
	s_and_saveexec_b64 s[56:57], s[26:27]
	s_cbranch_execnz .LBB22_168
	s_branch .LBB22_169
.LBB22_165:                             ;   in Loop: Header=BB22_15 Depth=1
	s_or_b64 exec, exec, s[56:57]
	s_and_saveexec_b64 s[56:57], s[0:1]
	s_cbranch_execz .LBB22_163
.LBB22_166:                             ;   in Loop: Header=BB22_15 Depth=1
	ds_read_u16 v37, v56 offset:1026
	s_waitcnt lgkmcnt(0)
	v_perm_b32 v44, v37, v44, s65
	s_or_b64 exec, exec, s[56:57]
	s_and_saveexec_b64 s[56:57], s[2:3]
	s_cbranch_execnz .LBB22_164
.LBB22_167:                             ;   in Loop: Header=BB22_15 Depth=1
	s_or_b64 exec, exec, s[56:57]
	s_and_saveexec_b64 s[56:57], s[26:27]
	s_cbranch_execz .LBB22_169
.LBB22_168:                             ;   in Loop: Header=BB22_15 Depth=1
	ds_read_u16 v37, v57 offset:1024
	s_waitcnt lgkmcnt(0)
	v_perm_b32 v45, v37, v45, s65
.LBB22_169:                             ;   in Loop: Header=BB22_15 Depth=1
	s_or_b64 exec, exec, s[56:57]
	v_mov_b32_e32 v37, v36
	v_mov_b64_e32 v[46:47], v[36:37]
	s_and_saveexec_b64 s[56:57], vcc
	s_cbranch_execz .LBB22_173
; %bb.170:                              ;   in Loop: Header=BB22_15 Depth=1
	ds_read_u16 v37, v58
	v_mov_b32_e32 v47, v36
	s_waitcnt lgkmcnt(0)
	v_and_b32_e32 v46, 0xffff, v37
	s_or_b64 exec, exec, s[56:57]
	s_and_saveexec_b64 s[56:57], s[0:1]
	s_cbranch_execnz .LBB22_174
.LBB22_171:                             ;   in Loop: Header=BB22_15 Depth=1
	s_or_b64 exec, exec, s[56:57]
	s_and_saveexec_b64 s[0:1], s[2:3]
	s_cbranch_execz .LBB22_175
.LBB22_172:                             ;   in Loop: Header=BB22_15 Depth=1
	ds_read_u16 v37, v58 offset:4
	s_waitcnt lgkmcnt(0)
	v_bfi_b32 v47, s67, v37, v47
	s_or_b64 exec, exec, s[0:1]
	s_and_saveexec_b64 s[0:1], s[26:27]
	s_cbranch_execz .LBB22_14
	s_branch .LBB22_176
.LBB22_173:                             ;   in Loop: Header=BB22_15 Depth=1
	s_or_b64 exec, exec, s[56:57]
	s_and_saveexec_b64 s[56:57], s[0:1]
	s_cbranch_execz .LBB22_171
.LBB22_174:                             ;   in Loop: Header=BB22_15 Depth=1
	ds_read_u16 v37, v58 offset:2
	s_waitcnt lgkmcnt(0)
	v_perm_b32 v46, v37, v46, s65
	s_or_b64 exec, exec, s[56:57]
	s_and_saveexec_b64 s[0:1], s[2:3]
	s_cbranch_execnz .LBB22_172
.LBB22_175:                             ;   in Loop: Header=BB22_15 Depth=1
	s_or_b64 exec, exec, s[0:1]
	s_and_saveexec_b64 s[0:1], s[26:27]
	s_cbranch_execz .LBB22_14
.LBB22_176:                             ;   in Loop: Header=BB22_15 Depth=1
	ds_read_u16 v37, v59
	s_waitcnt lgkmcnt(0)
	v_perm_b32 v47, v37, v47, s65
	s_branch .LBB22_14
.LBB22_177:
	v_mov_b32_e32 v14, 0
	v_mov_b32_e32 v15, v14
	;; [unrolled: 1-line block ×4, first 2 shown]
	v_mov_b64_e32 v[2:3], v[14:15]
	v_mov_b64_e32 v[6:7], v[14:15]
	;; [unrolled: 1-line block ×6, first 2 shown]
.LBB22_178:
	s_lshl_b64 s[0:1], s[42:43], 6
	s_cmp_lg_u64 s[36:37], 0
	s_cbranch_scc0 .LBB22_220
; %bb.179:
	v_cmp_eq_u32_e32 vcc, 0, v50
	s_and_saveexec_b64 s[2:3], vcc
	s_cbranch_execz .LBB22_217
; %bb.180:
	v_cmp_le_u32_e32 vcc, s41, v51
	s_and_saveexec_b64 s[4:5], vcc
	s_xor_b64 s[4:5], exec, s[4:5]
; %bb.181:
	v_mov_b32_e32 v1, 1.0
	ds_write_b32 v24, v1 offset:4928
; %bb.182:
	s_andn2_saveexec_b64 s[4:5], s[4:5]
	s_cbranch_execz .LBB22_188
; %bb.183:
	v_add_u32_e32 v18, s34, v51
	v_ashrrev_i32_e32 v19, 31, v18
	v_lshl_add_u64 v[18:19], v[18:19], 1, s[36:37]
	global_load_ushort v1, v[18:19], off
	s_movk_i32 s6, 0x1f8
	s_waitcnt vmcnt(0)
	v_lshlrev_b32_e32 v1, 16, v1
	v_cmp_class_f32_e64 s[6:7], v1, s6
	s_and_saveexec_b64 s[8:9], s[6:7]
	s_xor_b64 s[6:7], exec, s[8:9]
	s_cbranch_execz .LBB22_185
; %bb.184:
	v_add_u32_e32 v20, 0x1000, v24
	ds_read2_b32 v[18:19], v20 offset0:144 offset1:160
	v_max_f32_e32 v21, v1, v1
	s_mov_b32 s8, 0xff800000
	s_waitcnt lgkmcnt(0)
	v_max_f32_e32 v23, v19, v19
	v_max_f32_e32 v21, v23, v21
	v_sub_f32_e32 v23, v19, v21
	v_sub_f32_e32 v1, v1, v21
	v_mul_f32_e32 v23, 0x3fb8aa3b, v23
	v_exp_f32_e32 v23, v23
	v_mul_f32_e32 v1, 0x3fb8aa3b, v1
	v_exp_f32_e32 v1, v1
	v_cmp_neq_f32_e32 vcc, s8, v19
	s_nop 1
	v_cndmask_b32_e32 v19, 0, v23, vcc
	v_mul_f32_e32 v23, v18, v19
	v_fmac_f32_e32 v1, v18, v19
	v_div_scale_f32 v18, s[8:9], v1, v1, v23
	v_rcp_f32_e32 v19, v18
	v_div_scale_f32 v26, vcc, v23, v1, v23
	v_fma_f32 v27, -v18, v19, 1.0
	v_fmac_f32_e32 v19, v27, v19
	v_mul_f32_e32 v27, v26, v19
	v_fma_f32 v28, -v18, v27, v26
	v_fmac_f32_e32 v27, v28, v19
	v_fma_f32 v18, -v18, v27, v26
	v_div_fmas_f32 v18, v18, v19, v27
	v_div_fixup_f32 v18, v18, v1, v23
	v_cmp_lt_f32_e32 vcc, 0, v1
	s_nop 1
	v_cndmask_b32_e32 v18, 1.0, v18, vcc
	ds_write_b32 v24, v18 offset:4928
	ds_write2_b32 v20, v1, v21 offset0:144 offset1:160
.LBB22_185:
	s_andn2_saveexec_b64 s[6:7], s[6:7]
; %bb.186:
	v_mov_b32_e32 v1, 1.0
	ds_write_b32 v24, v1 offset:4928
; %bb.187:
	s_or_b64 exec, exec, s[6:7]
.LBB22_188:
	s_or_b64 exec, exec, s[4:5]
	v_or_b32_e32 v1, 1, v22
	v_cmp_le_u32_e32 vcc, s33, v1
	s_and_saveexec_b64 s[4:5], vcc
	s_xor_b64 s[4:5], exec, s[4:5]
	s_cbranch_execz .LBB22_192
; %bb.189:
	v_cmp_gt_u32_e32 vcc, 64, v0
	s_and_saveexec_b64 s[6:7], vcc
; %bb.190:
	v_lshlrev_b32_e32 v1, 2, v22
	v_mov_b32_e32 v18, 1.0
	ds_write_b32 v1, v18 offset:4932
; %bb.191:
	s_or_b64 exec, exec, s[6:7]
.LBB22_192:
	s_andn2_saveexec_b64 s[4:5], s[4:5]
	s_cbranch_execz .LBB22_198
; %bb.193:
	s_ashr_i32 s35, s34, 31
	v_mov_b32_e32 v23, 0
	v_lshl_add_u64 v[18:19], v[22:23], 0, s[34:35]
	v_lshl_add_u64 v[18:19], v[18:19], 1, s[36:37]
	global_load_ushort v1, v[18:19], off offset:2
	s_movk_i32 s6, 0x1f8
	s_waitcnt vmcnt(0)
	v_lshlrev_b32_e32 v1, 16, v1
	v_cmp_class_f32_e64 s[6:7], v1, s6
	s_and_saveexec_b64 s[8:9], s[6:7]
	s_xor_b64 s[6:7], exec, s[8:9]
	s_cbranch_execz .LBB22_195
; %bb.194:
	v_lshlrev_b32_e32 v20, 2, v22
	v_add_u32_e32 v21, 0x1000, v20
	ds_read2_b32 v[18:19], v21 offset0:145 offset1:161
	v_max_f32_e32 v23, v1, v1
	s_mov_b32 s8, 0xff800000
	s_waitcnt lgkmcnt(0)
	v_max_f32_e32 v26, v19, v19
	v_max_f32_e32 v23, v26, v23
	v_sub_f32_e32 v26, v19, v23
	v_sub_f32_e32 v1, v1, v23
	v_mul_f32_e32 v26, 0x3fb8aa3b, v26
	v_exp_f32_e32 v26, v26
	v_mul_f32_e32 v1, 0x3fb8aa3b, v1
	v_exp_f32_e32 v1, v1
	v_cmp_neq_f32_e32 vcc, s8, v19
	s_nop 1
	v_cndmask_b32_e32 v19, 0, v26, vcc
	v_mul_f32_e32 v26, v18, v19
	v_fmac_f32_e32 v1, v18, v19
	v_div_scale_f32 v18, s[8:9], v1, v1, v26
	v_rcp_f32_e32 v19, v18
	v_div_scale_f32 v27, vcc, v26, v1, v26
	v_fma_f32 v28, -v18, v19, 1.0
	v_fmac_f32_e32 v19, v28, v19
	v_mul_f32_e32 v28, v27, v19
	v_fma_f32 v29, -v18, v28, v27
	v_fmac_f32_e32 v28, v29, v19
	v_fma_f32 v18, -v18, v28, v27
	v_div_fmas_f32 v18, v18, v19, v28
	v_div_fixup_f32 v18, v18, v1, v26
	v_cmp_lt_f32_e32 vcc, 0, v1
	s_nop 1
	v_cndmask_b32_e32 v18, 1.0, v18, vcc
	ds_write_b32 v20, v18 offset:4932
	ds_write2_b32 v21, v1, v23 offset0:145 offset1:161
.LBB22_195:
	s_andn2_saveexec_b64 s[6:7], s[6:7]
; %bb.196:
	v_lshlrev_b32_e32 v1, 2, v22
	v_mov_b32_e32 v18, 1.0
	ds_write_b32 v1, v18 offset:4932
; %bb.197:
	s_or_b64 exec, exec, s[6:7]
.LBB22_198:
	s_or_b64 exec, exec, s[4:5]
	v_or_b32_e32 v1, 2, v22
	v_cmp_le_u32_e32 vcc, s33, v1
	s_and_saveexec_b64 s[4:5], vcc
	s_xor_b64 s[4:5], exec, s[4:5]
	s_cbranch_execz .LBB22_202
; %bb.199:
	v_cmp_gt_u32_e32 vcc, 64, v0
	s_and_saveexec_b64 s[6:7], vcc
; %bb.200:
	v_lshlrev_b32_e32 v1, 2, v22
	v_mov_b32_e32 v18, 1.0
	ds_write_b32 v1, v18 offset:4936
; %bb.201:
	s_or_b64 exec, exec, s[6:7]
.LBB22_202:
	s_andn2_saveexec_b64 s[4:5], s[4:5]
	s_cbranch_execz .LBB22_208
; %bb.203:
	s_ashr_i32 s35, s34, 31
	v_mov_b32_e32 v23, 0
	v_lshl_add_u64 v[18:19], v[22:23], 0, s[34:35]
	v_lshl_add_u64 v[18:19], v[18:19], 1, s[36:37]
	global_load_ushort v1, v[18:19], off offset:4
	s_movk_i32 s6, 0x1f8
	s_waitcnt vmcnt(0)
	v_lshlrev_b32_e32 v1, 16, v1
	v_cmp_class_f32_e64 s[6:7], v1, s6
	s_and_saveexec_b64 s[8:9], s[6:7]
	s_xor_b64 s[6:7], exec, s[8:9]
	s_cbranch_execz .LBB22_205
; %bb.204:
	v_lshlrev_b32_e32 v20, 2, v22
	v_add_u32_e32 v21, 0x1000, v20
	ds_read2_b32 v[18:19], v21 offset0:146 offset1:162
	v_max_f32_e32 v23, v1, v1
	s_mov_b32 s8, 0xff800000
	s_waitcnt lgkmcnt(0)
	v_max_f32_e32 v26, v19, v19
	v_max_f32_e32 v23, v26, v23
	v_sub_f32_e32 v26, v19, v23
	v_sub_f32_e32 v1, v1, v23
	v_mul_f32_e32 v26, 0x3fb8aa3b, v26
	v_exp_f32_e32 v26, v26
	v_mul_f32_e32 v1, 0x3fb8aa3b, v1
	v_exp_f32_e32 v1, v1
	v_cmp_neq_f32_e32 vcc, s8, v19
	s_nop 1
	v_cndmask_b32_e32 v19, 0, v26, vcc
	v_mul_f32_e32 v26, v18, v19
	v_fmac_f32_e32 v1, v18, v19
	v_div_scale_f32 v18, s[8:9], v1, v1, v26
	v_rcp_f32_e32 v19, v18
	v_div_scale_f32 v27, vcc, v26, v1, v26
	v_fma_f32 v28, -v18, v19, 1.0
	v_fmac_f32_e32 v19, v28, v19
	v_mul_f32_e32 v28, v27, v19
	v_fma_f32 v29, -v18, v28, v27
	v_fmac_f32_e32 v28, v29, v19
	v_fma_f32 v18, -v18, v28, v27
	v_div_fmas_f32 v18, v18, v19, v28
	v_div_fixup_f32 v18, v18, v1, v26
	v_cmp_lt_f32_e32 vcc, 0, v1
	s_nop 1
	v_cndmask_b32_e32 v18, 1.0, v18, vcc
	ds_write_b32 v20, v18 offset:4936
	ds_write2_b32 v21, v1, v23 offset0:146 offset1:162
.LBB22_205:
	s_andn2_saveexec_b64 s[6:7], s[6:7]
; %bb.206:
	v_lshlrev_b32_e32 v1, 2, v22
	v_mov_b32_e32 v18, 1.0
	ds_write_b32 v1, v18 offset:4936
; %bb.207:
	s_or_b64 exec, exec, s[6:7]
.LBB22_208:
	s_or_b64 exec, exec, s[4:5]
	v_cmp_le_u32_e32 vcc, s33, v25
	s_and_saveexec_b64 s[4:5], vcc
	s_xor_b64 s[4:5], exec, s[4:5]
	s_cbranch_execz .LBB22_212
; %bb.209:
	v_cmp_gt_u32_e32 vcc, 64, v0
	s_and_saveexec_b64 s[6:7], vcc
; %bb.210:
	v_lshlrev_b32_e32 v1, 2, v22
	v_mov_b32_e32 v18, 1.0
	ds_write_b32 v1, v18 offset:4940
; %bb.211:
	s_or_b64 exec, exec, s[6:7]
.LBB22_212:
	s_andn2_saveexec_b64 s[4:5], s[4:5]
	s_cbranch_execz .LBB22_217
; %bb.213:
	s_ashr_i32 s35, s34, 31
	v_mov_b32_e32 v23, 0
	v_lshl_add_u64 v[18:19], v[22:23], 0, s[34:35]
	v_lshl_add_u64 v[18:19], v[18:19], 1, s[36:37]
	global_load_ushort v1, v[18:19], off offset:6
	s_movk_i32 s4, 0x1f8
	s_waitcnt vmcnt(0)
	v_lshlrev_b32_e32 v18, 16, v1
	v_cmp_class_f32_e64 s[4:5], v18, s4
	v_lshlrev_b32_e32 v1, 2, v22
	s_and_saveexec_b64 s[6:7], s[4:5]
	s_xor_b64 s[4:5], exec, s[6:7]
	s_cbranch_execz .LBB22_215
; %bb.214:
	v_add_u32_e32 v19, 0x1000, v1
	ds_read2_b32 v[20:21], v19 offset0:147 offset1:163
	v_max_f32_e32 v23, v18, v18
	s_mov_b32 s6, 0xff800000
	s_waitcnt lgkmcnt(0)
	v_max_f32_e32 v26, v21, v21
	v_max_f32_e32 v23, v26, v23
	v_sub_f32_e32 v26, v21, v23
	v_sub_f32_e32 v18, v18, v23
	v_mul_f32_e32 v26, 0x3fb8aa3b, v26
	v_exp_f32_e32 v26, v26
	v_mul_f32_e32 v18, 0x3fb8aa3b, v18
	v_exp_f32_e32 v18, v18
	v_cmp_neq_f32_e32 vcc, s6, v21
	s_nop 1
	v_cndmask_b32_e32 v21, 0, v26, vcc
	v_mul_f32_e32 v26, v20, v21
	v_fmac_f32_e32 v18, v20, v21
	v_div_scale_f32 v20, s[6:7], v18, v18, v26
	v_rcp_f32_e32 v21, v20
	v_div_scale_f32 v27, vcc, v26, v18, v26
	v_fma_f32 v28, -v20, v21, 1.0
	v_fmac_f32_e32 v21, v28, v21
	v_mul_f32_e32 v28, v27, v21
	v_fma_f32 v29, -v20, v28, v27
	v_fmac_f32_e32 v28, v29, v21
	v_fma_f32 v20, -v20, v28, v27
	v_div_fmas_f32 v20, v20, v21, v28
	v_div_fixup_f32 v20, v20, v18, v26
	v_cmp_lt_f32_e32 vcc, 0, v18
	s_nop 1
	v_cndmask_b32_e32 v20, 1.0, v20, vcc
	ds_write_b32 v1, v20 offset:4940
	ds_write2_b32 v19, v18, v23 offset0:147 offset1:163
                                        ; implicit-def: $vgpr1
.LBB22_215:
	s_andn2_saveexec_b64 s[4:5], s[4:5]
; %bb.216:
	v_mov_b32_e32 v18, 1.0
	ds_write_b32 v1, v18 offset:4940
.LBB22_217:
	s_or_b64 exec, exec, s[2:3]
	s_waitcnt lgkmcnt(0)
	s_barrier
	ds_read_b96 v[18:20], v24 offset:4928
	v_cmp_gt_u32_e32 vcc, 64, v0
	v_mov_b32_e32 v1, 1.0
	s_and_saveexec_b64 s[2:3], vcc
; %bb.218:
	v_lshl_or_b32 v1, v22, 2, 12
	ds_read_b32 v1, v1 offset:4928
; %bb.219:
	s_or_b64 exec, exec, s[2:3]
	s_waitcnt lgkmcnt(0)
	v_pk_mul_f32 v[10:11], v[10:11], v[18:19]
	v_pk_mul_f32 v[14:15], v[14:15], v[18:19]
	;; [unrolled: 1-line block ×4, first 2 shown]
	v_mul_f32_e32 v16, v16, v20
	v_mul_f32_e32 v4, v4, v20
	v_mul_f32_e32 v8, v8, v20
	v_mul_f32_e32 v12, v12, v20
	v_mul_f32_e32 v17, v17, v1
	v_mul_f32_e32 v5, v5, v1
	v_mul_f32_e32 v9, v9, v1
	v_mul_f32_e32 v13, v13, v1
.LBB22_220:
	s_lshl_b64 s[0:1], s[0:1], 2
	s_add_u32 s0, s38, s0
	v_or_b32_e32 v18, 48, v0
	s_addc_u32 s1, s39, s1
	v_mov_b32_e32 v1, 0
	v_cmp_gt_u32_e32 vcc, s41, v51
	v_lshlrev_b32_e32 v0, 2, v50
	v_lshlrev_b32_e32 v18, 2, v18
	s_and_saveexec_b64 s[2:3], vcc
	s_cbranch_execz .LBB22_224
; %bb.221:
	v_add_u32_e32 v20, s34, v51
	v_ashrrev_i32_e32 v21, 31, v20
	v_lshlrev_b64 v[20:21], 8, v[20:21]
	v_lshl_add_u64 v[20:21], s[0:1], 0, v[20:21]
	v_mov_b32_e32 v19, v1
	v_lshl_add_u64 v[22:23], v[20:21], 0, v[0:1]
	v_lshl_add_u64 v[20:21], v[20:21], 0, v[18:19]
	global_store_dword v[22:23], v14, off
	global_store_dword v[22:23], v2, off offset:64
	global_store_dword v[22:23], v6, off offset:128
	global_store_dword v[20:21], v10, off
	s_or_b64 exec, exec, s[2:3]
	v_cmp_gt_u32_e32 vcc, s33, v53
	s_and_saveexec_b64 s[2:3], vcc
	s_cbranch_execnz .LBB22_225
.LBB22_222:
	s_or_b64 exec, exec, s[2:3]
	v_cmp_gt_u32_e32 vcc, s33, v52
	s_and_saveexec_b64 s[2:3], vcc
	s_cbranch_execz .LBB22_226
.LBB22_223:
	v_add_u32_e32 v2, s34, v52
	v_ashrrev_i32_e32 v3, 31, v2
	v_lshlrev_b64 v[2:3], 8, v[2:3]
	v_mov_b32_e32 v1, 0
	v_lshl_add_u64 v[2:3], s[0:1], 0, v[2:3]
	v_mov_b32_e32 v19, v1
	v_lshl_add_u64 v[6:7], v[2:3], 0, v[0:1]
	v_lshl_add_u64 v[2:3], v[2:3], 0, v[18:19]
	global_store_dword v[6:7], v16, off
	global_store_dword v[6:7], v4, off offset:64
	global_store_dword v[6:7], v8, off offset:128
	global_store_dword v[2:3], v12, off
	s_or_b64 exec, exec, s[2:3]
	v_cmp_gt_u32_e32 vcc, s33, v25
	s_and_b64 exec, exec, vcc
	s_cbranch_execnz .LBB22_227
	s_branch .LBB22_228
.LBB22_224:
	s_or_b64 exec, exec, s[2:3]
	v_cmp_gt_u32_e32 vcc, s33, v53
	s_and_saveexec_b64 s[2:3], vcc
	s_cbranch_execz .LBB22_222
.LBB22_225:
	v_add_u32_e32 v20, s34, v53
	v_ashrrev_i32_e32 v21, 31, v20
	v_lshlrev_b64 v[20:21], 8, v[20:21]
	v_lshl_add_u64 v[20:21], s[0:1], 0, v[20:21]
	v_mov_b32_e32 v1, 0
	v_lshl_add_u64 v[22:23], v[20:21], 0, v[0:1]
	v_mov_b32_e32 v19, v1
	global_store_dword v[22:23], v15, off
	global_store_dword v[22:23], v3, off offset:64
	global_store_dword v[22:23], v7, off offset:128
	v_lshl_add_u64 v[2:3], v[20:21], 0, v[18:19]
	global_store_dword v[2:3], v11, off
	s_or_b64 exec, exec, s[2:3]
	v_cmp_gt_u32_e32 vcc, s33, v52
	s_and_saveexec_b64 s[2:3], vcc
	s_cbranch_execnz .LBB22_223
.LBB22_226:
	s_or_b64 exec, exec, s[2:3]
	v_cmp_gt_u32_e32 vcc, s33, v25
	s_and_b64 exec, exec, vcc
	s_cbranch_execz .LBB22_228
.LBB22_227:
	v_add_u32_e32 v2, s34, v25
	v_ashrrev_i32_e32 v3, 31, v2
	v_lshlrev_b64 v[2:3], 8, v[2:3]
	v_mov_b32_e32 v1, 0
	v_lshl_add_u64 v[2:3], s[0:1], 0, v[2:3]
	v_mov_b32_e32 v19, v1
	v_lshl_add_u64 v[6:7], v[2:3], 0, v[0:1]
	v_lshl_add_u64 v[0:1], v[2:3], 0, v[18:19]
	global_store_dword v[6:7], v17, off
	global_store_dword v[6:7], v5, off offset:64
	global_store_dword v[6:7], v9, off offset:128
	global_store_dword v[0:1], v13, off
.LBB22_228:
	s_endpgm
	.section	.rodata,"a",@progbits
	.p2align	6, 0x0
	.amdhsa_kernel _Z22fa2_decode_mfma_head64I14__hip_bfloat16Lb1ELi16ELi16EEvPKfPKvS4_S2_PKS0_PfiiiiiiiiPKiS9_xPKxS9_S9_i
		.amdhsa_group_segment_fixed_size 4992
		.amdhsa_private_segment_fixed_size 0
		.amdhsa_kernarg_size 132
		.amdhsa_user_sgpr_count 2
		.amdhsa_user_sgpr_dispatch_ptr 0
		.amdhsa_user_sgpr_queue_ptr 0
		.amdhsa_user_sgpr_kernarg_segment_ptr 1
		.amdhsa_user_sgpr_dispatch_id 0
		.amdhsa_user_sgpr_kernarg_preload_length 0
		.amdhsa_user_sgpr_kernarg_preload_offset 0
		.amdhsa_user_sgpr_private_segment_size 0
		.amdhsa_uses_dynamic_stack 0
		.amdhsa_enable_private_segment 0
		.amdhsa_system_sgpr_workgroup_id_x 1
		.amdhsa_system_sgpr_workgroup_id_y 1
		.amdhsa_system_sgpr_workgroup_id_z 0
		.amdhsa_system_sgpr_workgroup_info 0
		.amdhsa_system_vgpr_workitem_id 0
		.amdhsa_next_free_vgpr 96
		.amdhsa_next_free_sgpr 76
		.amdhsa_accum_offset 96
		.amdhsa_reserve_vcc 1
		.amdhsa_float_round_mode_32 0
		.amdhsa_float_round_mode_16_64 0
		.amdhsa_float_denorm_mode_32 3
		.amdhsa_float_denorm_mode_16_64 3
		.amdhsa_dx10_clamp 1
		.amdhsa_ieee_mode 1
		.amdhsa_fp16_overflow 0
		.amdhsa_tg_split 0
		.amdhsa_exception_fp_ieee_invalid_op 0
		.amdhsa_exception_fp_denorm_src 0
		.amdhsa_exception_fp_ieee_div_zero 0
		.amdhsa_exception_fp_ieee_overflow 0
		.amdhsa_exception_fp_ieee_underflow 0
		.amdhsa_exception_fp_ieee_inexact 0
		.amdhsa_exception_int_div_zero 0
	.end_amdhsa_kernel
	.section	.text._Z22fa2_decode_mfma_head64I14__hip_bfloat16Lb1ELi16ELi16EEvPKfPKvS4_S2_PKS0_PfiiiiiiiiPKiS9_xPKxS9_S9_i,"axG",@progbits,_Z22fa2_decode_mfma_head64I14__hip_bfloat16Lb1ELi16ELi16EEvPKfPKvS4_S2_PKS0_PfiiiiiiiiPKiS9_xPKxS9_S9_i,comdat
.Lfunc_end22:
	.size	_Z22fa2_decode_mfma_head64I14__hip_bfloat16Lb1ELi16ELi16EEvPKfPKvS4_S2_PKS0_PfiiiiiiiiPKiS9_xPKxS9_S9_i, .Lfunc_end22-_Z22fa2_decode_mfma_head64I14__hip_bfloat16Lb1ELi16ELi16EEvPKfPKvS4_S2_PKS0_PfiiiiiiiiPKiS9_xPKxS9_S9_i
                                        ; -- End function
	.set _Z22fa2_decode_mfma_head64I14__hip_bfloat16Lb1ELi16ELi16EEvPKfPKvS4_S2_PKS0_PfiiiiiiiiPKiS9_xPKxS9_S9_i.num_vgpr, 96
	.set _Z22fa2_decode_mfma_head64I14__hip_bfloat16Lb1ELi16ELi16EEvPKfPKvS4_S2_PKS0_PfiiiiiiiiPKiS9_xPKxS9_S9_i.num_agpr, 0
	.set _Z22fa2_decode_mfma_head64I14__hip_bfloat16Lb1ELi16ELi16EEvPKfPKvS4_S2_PKS0_PfiiiiiiiiPKiS9_xPKxS9_S9_i.numbered_sgpr, 76
	.set _Z22fa2_decode_mfma_head64I14__hip_bfloat16Lb1ELi16ELi16EEvPKfPKvS4_S2_PKS0_PfiiiiiiiiPKiS9_xPKxS9_S9_i.num_named_barrier, 0
	.set _Z22fa2_decode_mfma_head64I14__hip_bfloat16Lb1ELi16ELi16EEvPKfPKvS4_S2_PKS0_PfiiiiiiiiPKiS9_xPKxS9_S9_i.private_seg_size, 0
	.set _Z22fa2_decode_mfma_head64I14__hip_bfloat16Lb1ELi16ELi16EEvPKfPKvS4_S2_PKS0_PfiiiiiiiiPKiS9_xPKxS9_S9_i.uses_vcc, 1
	.set _Z22fa2_decode_mfma_head64I14__hip_bfloat16Lb1ELi16ELi16EEvPKfPKvS4_S2_PKS0_PfiiiiiiiiPKiS9_xPKxS9_S9_i.uses_flat_scratch, 0
	.set _Z22fa2_decode_mfma_head64I14__hip_bfloat16Lb1ELi16ELi16EEvPKfPKvS4_S2_PKS0_PfiiiiiiiiPKiS9_xPKxS9_S9_i.has_dyn_sized_stack, 0
	.set _Z22fa2_decode_mfma_head64I14__hip_bfloat16Lb1ELi16ELi16EEvPKfPKvS4_S2_PKS0_PfiiiiiiiiPKiS9_xPKxS9_S9_i.has_recursion, 0
	.set _Z22fa2_decode_mfma_head64I14__hip_bfloat16Lb1ELi16ELi16EEvPKfPKvS4_S2_PKS0_PfiiiiiiiiPKiS9_xPKxS9_S9_i.has_indirect_call, 0
	.section	.AMDGPU.csdata,"",@progbits
; Kernel info:
; codeLenInByte = 9708
; TotalNumSgprs: 82
; NumVgprs: 96
; NumAgprs: 0
; TotalNumVgprs: 96
; ScratchSize: 0
; MemoryBound: 0
; FloatMode: 240
; IeeeMode: 1
; LDSByteSize: 4992 bytes/workgroup (compile time only)
; SGPRBlocks: 10
; VGPRBlocks: 11
; NumSGPRsForWavesPerEU: 82
; NumVGPRsForWavesPerEU: 96
; AccumOffset: 96
; Occupancy: 5
; WaveLimiterHint : 1
; COMPUTE_PGM_RSRC2:SCRATCH_EN: 0
; COMPUTE_PGM_RSRC2:USER_SGPR: 2
; COMPUTE_PGM_RSRC2:TRAP_HANDLER: 0
; COMPUTE_PGM_RSRC2:TGID_X_EN: 1
; COMPUTE_PGM_RSRC2:TGID_Y_EN: 1
; COMPUTE_PGM_RSRC2:TGID_Z_EN: 0
; COMPUTE_PGM_RSRC2:TIDIG_COMP_CNT: 0
; COMPUTE_PGM_RSRC3_GFX90A:ACCUM_OFFSET: 23
; COMPUTE_PGM_RSRC3_GFX90A:TG_SPLIT: 0
	.section	.text._Z22fa2_decode_mfma_head64I14__hip_bfloat16Lb0ELi16ELi16EEvPKfPKvS4_S2_PKS0_PfiiiiiiiiPKiS9_xPKxS9_S9_i,"axG",@progbits,_Z22fa2_decode_mfma_head64I14__hip_bfloat16Lb0ELi16ELi16EEvPKfPKvS4_S2_PKS0_PfiiiiiiiiPKiS9_xPKxS9_S9_i,comdat
	.protected	_Z22fa2_decode_mfma_head64I14__hip_bfloat16Lb0ELi16ELi16EEvPKfPKvS4_S2_PKS0_PfiiiiiiiiPKiS9_xPKxS9_S9_i ; -- Begin function _Z22fa2_decode_mfma_head64I14__hip_bfloat16Lb0ELi16ELi16EEvPKfPKvS4_S2_PKS0_PfiiiiiiiiPKiS9_xPKxS9_S9_i
	.globl	_Z22fa2_decode_mfma_head64I14__hip_bfloat16Lb0ELi16ELi16EEvPKfPKvS4_S2_PKS0_PfiiiiiiiiPKiS9_xPKxS9_S9_i
	.p2align	8
	.type	_Z22fa2_decode_mfma_head64I14__hip_bfloat16Lb0ELi16ELi16EEvPKfPKvS4_S2_PKS0_PfiiiiiiiiPKiS9_xPKxS9_S9_i,@function
_Z22fa2_decode_mfma_head64I14__hip_bfloat16Lb0ELi16ELi16EEvPKfPKvS4_S2_PKS0_PfiiiiiiiiPKiS9_xPKxS9_S9_i: ; @_Z22fa2_decode_mfma_head64I14__hip_bfloat16Lb0ELi16ELi16EEvPKfPKvS4_S2_PKS0_PfiiiiiiiiPKiS9_xPKxS9_S9_i
; %bb.0:
	s_mov_b32 s14, s3
	s_load_dword s3, s[0:1], 0x30
	s_load_dwordx2 s[48:49], s[0:1], 0x3c
	v_cmp_gt_u32_e32 vcc, 64, v0
	s_waitcnt lgkmcnt(0)
	s_cmp_lt_i32 s14, s3
	s_cselect_b64 s[4:5], -1, 0
	s_and_b64 s[4:5], vcc, s[4:5]
	s_cmp_gt_i32 s49, 0
	s_cselect_b64 s[6:7], -1, 0
	s_and_b64 s[4:5], s[4:5], s[6:7]
	s_and_saveexec_b64 s[6:7], s[4:5]
	s_cbranch_execz .LBB23_204
; %bb.1:
	s_load_dwordx2 s[16:17], s[0:1], 0x48
	s_mul_i32 s42, s49, s2
	s_waitcnt lgkmcnt(0)
	s_cmp_ge_i32 s42, s17
	s_cbranch_scc1 .LBB23_204
; %bb.2:
	s_load_dwordx4 s[8:11], s[0:1], 0x50
	s_load_dwordx2 s[6:7], s[0:1], 0x78
	s_load_dwordx4 s[20:23], s[0:1], 0x68
	s_load_dwordx2 s[18:19], s[0:1], 0x0
	s_ashr_i32 s15, s14, 31
	s_lshl_b64 s[24:25], s[14:15], 2
	s_waitcnt lgkmcnt(0)
	s_add_u32 s4, s8, s24
	s_addc_u32 s5, s9, s25
	s_ashr_i32 s9, s16, 31
	s_mov_b32 s8, s16
	s_lshl_b64 s[12:13], s[8:9], 2
	s_add_u32 s6, s6, s12
	s_addc_u32 s7, s7, s13
	s_lshl_b64 s[8:9], s[8:9], 3
	s_add_u32 s8, s20, s8
	s_addc_u32 s9, s21, s9
	s_add_u32 s12, s22, s12
	s_addc_u32 s13, s23, s13
	;; [unrolled: 2-line block ×3, first 2 shown]
	v_cmp_gt_u32_e64 s[40:41], 16, v0
	s_and_saveexec_b64 s[20:21], s[40:41]
; %bb.3:
	v_lshlrev_b32_e32 v1, 2, v0
	v_mov_b32_e32 v2, 0xff800000
	v_mov_b32_e32 v3, 0
	v_add_u32_e32 v1, 0x1000, v1
	ds_write2_b32 v1, v3, v2 offset0:144 offset1:160
; %bb.4:
	s_or_b64 exec, exec, s[20:21]
	s_mul_hi_i32 s51, s14, s17
	s_mul_i32 s50, s14, s17
	v_and_b32_e32 v48, 15, v0
	s_lshl_b64 s[14:15], s[50:51], 8
	v_rsq_f32_e32 v2, 0x42800000
	v_add_u32_e32 v4, s42, v48
	s_add_u32 s14, s18, s14
	v_ashrrev_i32_e32 v5, 31, v4
	v_lshrrev_b32_e32 v22, 2, v0
	s_addc_u32 s15, s19, s15
	v_lshlrev_b64 v[4:5], 8, v[4:5]
	v_and_b32_e32 v49, 12, v22
	v_cmp_gt_u32_e64 s[38:39], s49, v48
	v_lshl_add_u64 v[4:5], s[14:15], 0, v[4:5]
	v_mov_b32_e32 v26, 0
	v_lshlrev_b32_e32 v24, 2, v49
	v_mov_b32_e32 v28, 0
	v_mov_b32_e32 v29, 0
	s_waitcnt lgkmcnt(0)
	s_barrier
	s_and_saveexec_b64 s[14:15], s[38:39]
	s_cbranch_execz .LBB23_6
; %bb.5:
	v_mov_b32_e32 v25, 0
	v_lshl_add_u64 v[6:7], v[4:5], 0, v[24:25]
	v_lshl_or_b32 v10, v22, 2, 12
	v_mov_b32_e32 v11, v25
	global_load_dwordx3 v[6:8], v[6:7], off
	v_lshl_add_u64 v[10:11], v[4:5], 0, v[10:11]
	global_load_dword v9, v[10:11], off
	s_waitcnt vmcnt(1)
	v_pk_mul_f32 v[6:7], v[2:3], v[6:7] op_sel_hi:[0,1]
	v_cvt_pk_bf16_f32 v28, v6, v7
	s_waitcnt vmcnt(0)
	v_pk_mul_f32 v[6:7], v[2:3], v[8:9] op_sel_hi:[0,1]
	v_cvt_pk_bf16_f32 v29, v6, v7
.LBB23_6:
	s_or_b64 exec, exec, s[14:15]
	v_mov_b32_e32 v27, 0
	s_and_saveexec_b64 s[14:15], s[38:39]
	s_cbranch_execz .LBB23_8
; %bb.7:
	v_mov_b32_e32 v25, 0
	v_mov_b32_e32 v1, 0x4c
	v_lshl_add_u64 v[6:7], v[4:5], 0, v[24:25]
	v_lshl_or_b32 v10, v22, 2, v1
	v_mov_b32_e32 v11, v25
	global_load_dwordx3 v[6:8], v[6:7], off offset:64
	v_lshl_add_u64 v[10:11], v[4:5], 0, v[10:11]
	global_load_dword v9, v[10:11], off
	s_waitcnt vmcnt(1)
	v_pk_mul_f32 v[6:7], v[2:3], v[6:7] op_sel_hi:[0,1]
	v_cvt_pk_bf16_f32 v26, v6, v7
	s_waitcnt vmcnt(0)
	v_pk_mul_f32 v[6:7], v[2:3], v[8:9] op_sel_hi:[0,1]
	v_cvt_pk_bf16_f32 v27, v6, v7
.LBB23_8:
	s_or_b64 exec, exec, s[14:15]
	v_mov_b32_e32 v30, 0
	v_mov_b32_e32 v32, 0
	;; [unrolled: 1-line block ×3, first 2 shown]
	s_and_saveexec_b64 s[14:15], s[38:39]
	s_cbranch_execz .LBB23_10
; %bb.9:
	v_mov_b32_e32 v25, 0
	v_mov_b32_e32 v1, 0x8c
	v_lshl_add_u64 v[6:7], v[4:5], 0, v[24:25]
	v_lshl_or_b32 v10, v22, 2, v1
	v_mov_b32_e32 v11, v25
	global_load_dwordx3 v[6:8], v[6:7], off offset:128
	v_lshl_add_u64 v[10:11], v[4:5], 0, v[10:11]
	global_load_dword v9, v[10:11], off
	s_waitcnt vmcnt(1)
	v_pk_mul_f32 v[6:7], v[2:3], v[6:7] op_sel_hi:[0,1]
	v_cvt_pk_bf16_f32 v32, v6, v7
	s_waitcnt vmcnt(0)
	v_pk_mul_f32 v[6:7], v[2:3], v[8:9] op_sel_hi:[0,1]
	v_cvt_pk_bf16_f32 v33, v6, v7
.LBB23_10:
	s_or_b64 exec, exec, s[14:15]
	s_load_dword s43, s[4:5], 0x0
	s_load_dword s3, s[6:7], 0x0
	;; [unrolled: 1-line block ×3, first 2 shown]
	v_mov_b32_e32 v31, 0
	s_and_saveexec_b64 s[4:5], s[38:39]
	s_cbranch_execz .LBB23_12
; %bb.11:
	v_mov_b32_e32 v25, 0
	v_mov_b32_e32 v1, 0xcc
	v_lshl_add_u64 v[6:7], v[4:5], 0, v[24:25]
	v_lshl_or_b32 v10, v22, 2, v1
	v_mov_b32_e32 v11, v25
	global_load_dwordx3 v[6:8], v[6:7], off offset:192
	v_lshl_add_u64 v[4:5], v[4:5], 0, v[10:11]
	global_load_dword v5, v[4:5], off
	s_waitcnt vmcnt(1)
	v_mov_b32_e32 v4, v8
	v_pk_mul_f32 v[6:7], v[2:3], v[6:7] op_sel_hi:[0,1]
	s_waitcnt vmcnt(0)
	v_pk_mul_f32 v[2:3], v[2:3], v[4:5] op_sel_hi:[0,1]
	v_cvt_pk_bf16_f32 v30, v6, v7
	v_cvt_pk_bf16_f32 v31, v2, v3
.LBB23_12:
	s_or_b64 exec, exec, s[4:5]
	s_waitcnt lgkmcnt(0)
	s_sub_i32 s4, s43, s62
	s_max_i32 s4, s4, -1
	s_add_i32 s6, s4, 1
	s_load_dwordx4 s[44:47], s[0:1], 0x20
	s_cmp_lg_u32 s3, 0
	s_cselect_b64 s[52:53], -1, 0
	s_and_b64 s[4:5], s[52:53], exec
	s_cselect_b32 s63, s6, 0
	s_min_u32 s33, s49, 16
	s_mov_b32 s64, 0
	s_cmp_le_i32 s63, s43
	v_cmp_gt_u32_e64 s[4:5], s49, v49
	v_cmp_eq_u32_e64 s[6:7], 0, v48
	v_or_b32_e32 v51, 1, v49
	v_or_b32_e32 v50, 2, v49
	;; [unrolled: 1-line block ×3, first 2 shown]
	s_cbranch_scc0 .LBB23_156
; %bb.13:
	s_load_dword s3, s[0:1], 0x80
	s_load_dwordx4 s[12:15], s[0:1], 0x8
	s_load_dwordx2 s[16:17], s[8:9], 0x0
	s_load_dword s18, s[10:11], 0x0
	v_mov_b32_e32 v7, 0x800
	s_waitcnt lgkmcnt(0)
	s_add_i32 s0, s3, -1
	s_cmp_lt_u32 s0, 16
	s_cselect_b32 s65, s3, 16
	s_add_i32 s67, s62, -1
	s_add_i32 s66, s43, 1
	s_and_b32 s0, s62, s67
	s_cmp_lg_u32 s0, 0
	s_cselect_b64 s[54:55], -1, 0
	s_ashr_i32 s0, s18, 31
	s_mul_i32 s3, s62, s48
	v_lshl_or_b32 v7, v48, 5, v7
	v_lshlrev_b32_e32 v8, 1, v49
	v_lshlrev_b32_e32 v9, 1, v25
	s_mul_hi_i32 s1, s62, s48
	s_mul_i32 s0, s3, s0
	s_mul_hi_u32 s10, s3, s18
	v_or_b32_e32 v54, v7, v8
	v_add_u32_e32 v55, v7, v9
	v_lshlrev_b32_e32 v7, 5, v0
	s_add_i32 s0, s10, s0
	s_mul_i32 s1, s1, s18
	v_or_b32_e32 v10, 0x600, v7
	s_ashr_i32 s9, s48, 31
	s_add_i32 s1, s0, s1
	s_mul_i32 s3, s3, s18
	v_mbcnt_lo_u32_b32 v2, -1, 0
	v_add_u32_e32 v10, 0x800, v10
	v_add_u32_e32 v58, 0x800, v7
	v_lshlrev_b32_e32 v7, 1, v22
	s_add_u32 s0, s3, s16
	v_lshlrev_b32_e32 v1, 7, v48
	v_mbcnt_hi_u32_b32 v2, -1, v2
	v_or_b32_e32 v56, v10, v8
	v_add_u32_e32 v57, v10, v9
	v_or_b32_e32 v10, 38, v7
	s_addc_u32 s1, s1, s17
	v_bitop3_b32 v4, v2, 15, v2 bitop3:0xc
	v_add_u32_e32 v61, v1, v10
	v_or_b32_e32 v10, 0x46, v7
	v_or_b32_e32 v7, 0x66, v7
	s_lshl_b64 s[10:11], s[0:1], 1
	v_or_b32_e32 v59, v1, v8
	v_add_u32_e32 v60, v1, v9
	v_add_u32_e32 v62, v1, v10
	;; [unrolled: 1-line block ×3, first 2 shown]
	v_bitop3_b32 v1, v2, 8, 15 bitop3:8
	v_cmp_gt_u32_e32 vcc, 4, v4
	s_add_u32 s0, s12, s10
	v_and_b32_e32 v3, 15, v2
	v_add_lshl_u32 v64, v1, v2, 2
	v_cndmask_b32_e64 v1, 4, 0, vcc
	v_cmp_gt_u32_e32 vcc, 2, v4
	s_addc_u32 s1, s13, s11
	v_add_lshl_u32 v65, v1, v2, 2
	v_cndmask_b32_e64 v1, 2, 0, vcc
	v_cmp_ne_u32_e32 vcc, 15, v3
	s_add_u32 s26, s14, s10
	v_add_lshl_u32 v66, v1, v2, 2
	v_addc_co_u32_e32 v1, vcc, 0, v2, vcc
	s_mov_b32 s8, s48
	s_addc_u32 s27, s15, s11
	v_lshlrev_b32_e32 v67, 2, v1
	v_lshlrev_b32_e32 v1, 2, v25
	s_abs_i32 s48, s62
	v_add_u32_e32 v70, 0x1200, v1
	v_add_u32_e32 v71, 0x1280, v1
	;; [unrolled: 1-line block ×5, first 2 shown]
	v_cvt_f32_u32_e32 v1, s48
	v_lshlrev_b32_e32 v5, 2, v2
	s_ashr_i32 s3, s2, 31
	s_lshl_b64 s[56:57], s[2:3], 7
	v_rcp_iflag_f32_e32 v1, v1
	s_movk_i32 s2, 0x100
	s_lshl_b64 s[58:59], s[8:9], 1
	v_and_b32_e32 v53, 0x1c0, v5
	v_mul_f32_e32 v1, 0x4f7ffffe, v1
	v_cvt_u32_f32_e32 v2, v1
	v_mov_b32_e32 v5, 0x1000
	v_cmp_gt_u32_e64 s[8:9], s2, v0
	s_sub_i32 s2, 0, s48
	v_lshl_or_b32 v5, v48, 1, v5
	v_mov_b32_e32 v36, 0
	v_mul_lo_u32 v3, s2, v2
	v_mov_b32_e32 v23, 0x12c0
	v_mad_u32_u24 v6, v48, 30, v5
	v_lshlrev_b32_e32 v34, 1, v0
	v_mov_b32_e32 v35, v36
	v_mul_hi_u32 v3, v2, v3
	v_lshl_or_b32 v52, v48, 2, v23
	v_cmp_le_u32_e64 s[10:11], s49, v49
	v_cmp_le_u32_e64 s[12:13], s33, v51
	v_cmp_gt_u32_e64 s[14:15], s33, v51
	v_cmp_le_u32_e64 s[16:17], s33, v50
	v_cmp_gt_u32_e64 s[18:19], s33, v50
	;; [unrolled: 2-line block ×3, first 2 shown]
	v_or_b32_e32 v68, 0x1200, v24
	v_or_b32_e32 v69, 0x1280, v24
	v_cmp_gt_u32_e64 s[24:25], 64, v0
	v_lshl_or_b32 v75, v49, 5, v5
	v_lshl_add_u32 v76, v25, 5, v5
	v_add_u32_e32 v77, v6, v8
	v_add_u32_e32 v78, v6, v9
	s_mov_b32 s68, s58
	s_mov_b32 s69, s59
	;; [unrolled: 1-line block ×4, first 2 shown]
	v_or_b32_e32 v1, 64, v0
	v_add_u32_e32 v79, v2, v3
	s_sub_i32 s70, s66, s63
	s_mov_b32 s71, 0x5040100
	s_mov_b32 s72, 0xff800000
	;; [unrolled: 1-line block ×4, first 2 shown]
	v_mov_b32_e32 v14, 0
	v_mov_b32_e32 v15, v36
	;; [unrolled: 1-line block ×16, first 2 shown]
	v_or_b32_e32 v80, 0x1300, v24
	v_or_b32_e32 v81, 0x1340, v24
	;; [unrolled: 1-line block ×3, first 2 shown]
	v_mov_b32_e32 v83, 0xff800000
	v_lshl_add_u64 v[38:39], s[0:1], 0, v[34:35]
	v_lshl_add_u64 v[40:41], s[26:27], 0, v[34:35]
	s_branch .LBB23_15
.LBB23_14:                              ;   in Loop: Header=BB23_15 Depth=1
	s_or_b64 exec, exec, s[0:1]
	v_mul_f32_e32 v14, v14, v84
	v_mul_f32_e32 v2, v2, v84
	;; [unrolled: 1-line block ×16, first 2 shown]
	v_mfma_f32_16x16x16_bf16 v[14:17], v[18:19], v[20:21], v[14:17]
	s_add_i32 s74, s74, s65
	s_add_i32 s64, s64, 1
	s_sub_i32 s70, s70, s65
	v_mfma_f32_16x16x16_bf16 v[2:5], v[18:19], v[42:43], v[2:5]
	s_cmp_gt_i32 s74, s43
	s_barrier
	v_mfma_f32_16x16x16_bf16 v[6:9], v[18:19], v[44:45], v[6:9]
	v_mfma_f32_16x16x16_bf16 v[10:13], v[18:19], v[46:47], v[10:13]
	s_cbranch_scc1 .LBB23_157
.LBB23_15:                              ; =>This Loop Header: Depth=1
                                        ;     Child Loop BB23_23 Depth 2
                                        ;     Child Loop BB23_29 Depth 2
	s_sub_i32 s0, s66, s74
	s_min_i32 s75, s0, s65
	v_cmp_le_u32_e64 s[28:29], s75, v48
	v_cmp_gt_u32_e64 s[26:27], s75, v48
	s_mov_b64 s[2:3], 0
                                        ; implicit-def: $vgpr18
	s_and_saveexec_b64 s[0:1], s[26:27]
	s_xor_b64 s[0:1], exec, s[0:1]
	s_cbranch_execnz .LBB23_68
; %bb.16:                               ;   in Loop: Header=BB23_15 Depth=1
	s_andn2_saveexec_b64 s[0:1], s[0:1]
	s_cbranch_execnz .LBB23_77
.LBB23_17:                              ;   in Loop: Header=BB23_15 Depth=1
	s_or_b64 exec, exec, s[0:1]
	s_and_saveexec_b64 s[0:1], s[2:3]
.LBB23_18:                              ;   in Loop: Header=BB23_15 Depth=1
	ds_write_b32 v52, v18
.LBB23_19:                              ;   in Loop: Header=BB23_15 Depth=1
	s_or_b64 exec, exec, s[0:1]
	s_min_u32 s76, s75, 16
	s_lshl_b32 s30, s76, 6
	v_cmp_gt_u32_e32 vcc, s30, v0
	s_waitcnt lgkmcnt(0)
	s_barrier
	s_and_saveexec_b64 s[0:1], vcc
	s_cbranch_execz .LBB23_30
; %bb.20:                               ;   in Loop: Header=BB23_15 Depth=1
	s_mul_i32 s2, s65, s64
	s_add_i32 s2, s63, s2
	s_sub_i32 s2, s66, s2
	s_min_i32 s31, s65, s2
	s_mov_b64 s[2:3], -1
	s_cmp_eq_u32 s31, 1
	v_mov_b32_e32 v18, v0
	s_cbranch_scc1 .LBB23_27
; %bb.21:                               ;   in Loop: Header=BB23_15 Depth=1
	s_min_u32 s2, s31, 16
	s_add_i32 s2, s2, -1
	s_and_b32 s2, s2, 0x3ffffff
	s_add_i32 s3, s2, -1
	s_cmp_lt_u32 s3, 2
	v_mov_b64_e32 v[18:19], v[0:1]
	s_cbranch_scc1 .LBB23_24
; %bb.22:                               ;   in Loop: Header=BB23_15 Depth=1
	s_min_i32 s31, s65, s70
	s_min_u32 s31, s31, 16
	s_add_i32 s31, s31, -1
	s_and_b32 s31, s31, 0x3ffffff
	s_add_i32 s31, s31, -1
	s_lshr_b32 s31, s31, 1
	s_add_i32 s31, s31, 1
	s_and_b32 s31, s31, -2
	v_mov_b64_e32 v[18:19], v[0:1]
.LBB23_23:                              ;   Parent Loop BB23_15 Depth=1
                                        ; =>  This Inner Loop Header: Depth=2
	v_lshrrev_b32_e32 v35, 6, v18
	v_add_u32_e32 v37, 0x80, v18
	v_lshl_add_u32 v44, v35, 2, v23
	v_lshrrev_b32_e32 v37, 6, v37
	ds_read2_b32 v[44:45], v44 offset1:1
	v_lshl_add_u32 v46, v37, 2, v23
	ds_read2_b32 v[46:47], v46 offset1:1
	v_mov_b64_e32 v[20:21], s[60:61]
	v_mov_b64_e32 v[42:43], s[56:57]
	s_waitcnt lgkmcnt(1)
	v_ashrrev_i32_e32 v88, 31, v44
	v_ashrrev_i32_e32 v89, 31, v45
	v_mad_u64_u32 v[84:85], s[34:35], s68, v45, v[20:21]
	v_mul_lo_u32 v45, s69, v45
	v_mad_u64_u32 v[86:87], s[34:35], s58, v44, v[42:43]
	v_mul_lo_u32 v44, s59, v44
	v_mul_lo_u32 v89, s68, v89
	;; [unrolled: 1-line block ×3, first 2 shown]
	s_waitcnt lgkmcnt(0)
	v_ashrrev_i32_e32 v90, 31, v46
	v_ashrrev_i32_e32 v91, 31, v47
	v_mad_u64_u32 v[20:21], s[34:35], s68, v47, v[20:21]
	v_mul_lo_u32 v92, s69, v47
	v_mad_u64_u32 v[42:43], s[34:35], s58, v46, v[42:43]
	v_mul_lo_u32 v93, s59, v46
	v_add3_u32 v85, v45, v85, v89
	v_add3_u32 v87, v44, v87, v88
	v_mul_lo_u32 v88, s68, v91
	v_mul_lo_u32 v89, s58, v90
	v_lshl_add_u64 v[44:45], v[38:39], 0, v[86:87]
	v_lshl_add_u64 v[46:47], v[38:39], 0, v[84:85]
	;; [unrolled: 1-line block ×4, first 2 shown]
	v_add3_u32 v21, v92, v21, v88
	v_add3_u32 v43, v93, v43, v89
	global_load_ushort v88, v[44:45], off
	global_load_ushort v89, v[46:47], off
	s_nop 0
	global_load_ushort v86, v[86:87], off
	s_nop 0
	global_load_ushort v84, v[84:85], off
	v_lshl_add_u64 v[44:45], v[38:39], 0, v[42:43]
	v_lshl_add_u64 v[46:47], v[38:39], 0, v[20:21]
	;; [unrolled: 1-line block ×4, first 2 shown]
	global_load_ushort v42, v[42:43], off
	s_nop 0
	global_load_ushort v20, v[20:21], off
	s_nop 0
	global_load_ushort v21, v[44:45], off
	global_load_ushort v43, v[46:47], off
	v_lshlrev_b32_e32 v44, 1, v19
	s_add_i32 s31, s31, -2
	v_and_b32_e32 v46, 0xffffff80, v44
	v_add_u32_e32 v44, 0x100, v44
	v_add_u32_e32 v19, 0x100, v19
	;; [unrolled: 1-line block ×3, first 2 shown]
	v_lshl_add_u32 v45, v35, 7, v34
	s_cmp_lg_u32 s31, 0
	v_lshl_add_u32 v47, v37, 7, v34
	v_and_b32_e32 v44, 0xffffff80, v44
	v_lshl_add_u32 v35, v35, 1, v58
	v_add_u32_e32 v46, v34, v46
	v_lshl_add_u32 v37, v37, 1, v58
	v_add_u32_e32 v44, v34, v44
	s_waitcnt vmcnt(4)
	v_perm_b32 v84, v84, v86, s71
	ds_write_b16 v45, v88
	ds_write_b16 v46, v89
	ds_write_b32 v35, v84
	s_waitcnt vmcnt(2)
	v_perm_b32 v20, v20, v42, s71
	s_waitcnt vmcnt(1)
	ds_write_b16 v47, v21
	s_waitcnt vmcnt(0)
	ds_write_b16 v44, v43
	ds_write_b32 v37, v20
	s_cbranch_scc1 .LBB23_23
.LBB23_24:                              ;   in Loop: Header=BB23_15 Depth=1
	s_bitcmp1_b32 s3, 1
	s_cbranch_scc1 .LBB23_26
; %bb.25:                               ;   in Loop: Header=BB23_15 Depth=1
	v_lshrrev_b32_e32 v18, 6, v18
	v_lshl_add_u32 v20, v18, 2, v23
	ds_read2_b32 v[20:21], v20 offset1:1
	v_mov_b32_e32 v42, s60
	v_mov_b32_e32 v43, s61
	;; [unrolled: 1-line block ×4, first 2 shown]
	s_waitcnt lgkmcnt(0)
	v_ashrrev_i32_e32 v37, 31, v21
	v_ashrrev_i32_e32 v35, 31, v20
	v_mul_lo_u32 v37, s68, v37
	v_mad_u64_u32 v[42:43], s[34:35], s68, v21, v[42:43]
	v_mul_lo_u32 v21, s69, v21
	v_add3_u32 v43, v21, v43, v37
	v_mul_lo_u32 v21, s58, v35
	v_mad_u64_u32 v[44:45], s[34:35], s58, v20, v[44:45]
	v_mul_lo_u32 v20, s59, v20
	v_add3_u32 v45, v20, v45, v21
	v_lshl_add_u64 v[20:21], v[38:39], 0, v[44:45]
	v_lshl_add_u64 v[44:45], v[40:41], 0, v[44:45]
	;; [unrolled: 1-line block ×4, first 2 shown]
	global_load_ushort v35, v[44:45], off
	global_load_ushort v37, v[42:43], off
	s_nop 0
	global_load_ushort v20, v[20:21], off
	s_nop 0
	global_load_ushort v21, v[46:47], off
	v_lshlrev_b32_e32 v19, 1, v19
	v_lshl_add_u32 v42, v18, 7, v34
	v_and_b32_e32 v19, 0xffffff80, v19
	v_lshl_add_u32 v18, v18, 1, v58
	v_add_u32_e32 v19, v34, v19
	s_waitcnt vmcnt(1)
	ds_write_b16 v42, v20
	s_waitcnt vmcnt(0)
	ds_write_b16 v19, v21
	v_perm_b32 v35, v37, v35, s71
	ds_write_b32 v18, v35
.LBB23_26:                              ;   in Loop: Header=BB23_15 Depth=1
	s_add_i32 s2, s2, 1
	s_and_b32 s3, s2, 0x7fffffe
	s_cmp_lg_u32 s2, s3
	v_lshl_or_b32 v18, s3, 6, v0
	s_cselect_b64 s[2:3], -1, 0
.LBB23_27:                              ;   in Loop: Header=BB23_15 Depth=1
	s_and_b64 vcc, exec, s[2:3]
	s_cbranch_vccz .LBB23_30
; %bb.28:                               ;   in Loop: Header=BB23_15 Depth=1
	v_lshrrev_b32_e32 v21, 6, v18
	v_lshl_add_u32 v19, v21, 7, v34
	v_lshl_add_u32 v20, v21, 1, v58
	;; [unrolled: 1-line block ×3, first 2 shown]
	s_mov_b64 s[2:3], 0
.LBB23_29:                              ;   Parent Loop BB23_15 Depth=1
                                        ; =>  This Inner Loop Header: Depth=2
	ds_read_b32 v35, v21
	v_mov_b64_e32 v[42:43], s[56:57]
	v_add_u32_e32 v18, 64, v18
	v_cmp_le_u32_e32 vcc, s30, v18
	v_add_u32_e32 v21, 4, v21
	s_waitcnt lgkmcnt(0)
	v_ashrrev_i32_e32 v37, 31, v35
	v_mad_u64_u32 v[42:43], s[34:35], s58, v35, v[42:43]
	v_mul_lo_u32 v35, s59, v35
	v_mul_lo_u32 v37, s58, v37
	v_add3_u32 v43, v35, v43, v37
	v_lshl_add_u64 v[44:45], v[38:39], 0, v[42:43]
	v_lshl_add_u64 v[42:43], v[40:41], 0, v[42:43]
	global_load_ushort v35, v[44:45], off
	global_load_ushort v37, v[42:43], off
	s_or_b64 s[2:3], vcc, s[2:3]
	s_waitcnt vmcnt(1)
	ds_write_b16 v19, v35
	s_waitcnt vmcnt(0)
	ds_write_b16 v20, v37
	v_add_u32_e32 v19, 0x80, v19
	v_add_u32_e32 v20, 2, v20
	s_andn2_b64 exec, exec, s[2:3]
	s_cbranch_execnz .LBB23_29
.LBB23_30:                              ;   in Loop: Header=BB23_15 Depth=1
	s_or_b64 exec, exec, s[0:1]
	v_mov_b32_e32 v42, 0
	v_mov_b32_e32 v18, 0
	;; [unrolled: 1-line block ×3, first 2 shown]
	s_waitcnt lgkmcnt(0)
	s_barrier
	s_and_saveexec_b64 s[0:1], s[26:27]
	s_cbranch_execz .LBB23_34
; %bb.31:                               ;   in Loop: Header=BB23_15 Depth=1
	ds_read_u16 v19, v59 offset:4
	ds_read_b32 v18, v59
	s_waitcnt lgkmcnt(1)
	v_and_b32_e32 v19, 0xffff, v19
	s_and_saveexec_b64 s[2:3], s[8:9]
	s_cbranch_execz .LBB23_33
; %bb.32:                               ;   in Loop: Header=BB23_15 Depth=1
	ds_read_u16 v20, v60
	s_waitcnt lgkmcnt(0)
	v_perm_b32 v19, v20, v19, s71
.LBB23_33:                              ;   in Loop: Header=BB23_15 Depth=1
	s_or_b64 exec, exec, s[2:3]
.LBB23_34:                              ;   in Loop: Header=BB23_15 Depth=1
	s_or_b64 exec, exec, s[0:1]
	s_waitcnt lgkmcnt(0)
	v_mfma_f32_16x16x16_bf16 v[18:21], v[28:29], v[18:19], 0
	v_mov_b32_e32 v43, 0
	s_and_saveexec_b64 s[0:1], s[26:27]
	s_cbranch_execz .LBB23_38
; %bb.35:                               ;   in Loop: Header=BB23_15 Depth=1
	ds_read_u16 v35, v59 offset:36
	ds_read_b32 v42, v59 offset:32
	s_waitcnt lgkmcnt(1)
	v_and_b32_e32 v43, 0xffff, v35
	s_and_saveexec_b64 s[2:3], s[8:9]
	s_cbranch_execz .LBB23_37
; %bb.36:                               ;   in Loop: Header=BB23_15 Depth=1
	ds_read_u16 v35, v61
	s_waitcnt lgkmcnt(0)
	v_perm_b32 v43, v35, v43, s71
.LBB23_37:                              ;   in Loop: Header=BB23_15 Depth=1
	s_or_b64 exec, exec, s[2:3]
.LBB23_38:                              ;   in Loop: Header=BB23_15 Depth=1
	s_or_b64 exec, exec, s[0:1]
	s_waitcnt lgkmcnt(0)
	v_mfma_f32_16x16x16_bf16 v[18:21], v[26:27], v[42:43], v[18:21]
	v_mov_b32_e32 v44, 0
	v_mov_b32_e32 v46, 0
	;; [unrolled: 1-line block ×3, first 2 shown]
	s_and_saveexec_b64 s[0:1], s[26:27]
	s_cbranch_execz .LBB23_42
; %bb.39:                               ;   in Loop: Header=BB23_15 Depth=1
	ds_read_u16 v35, v59 offset:68
	ds_read_b32 v46, v59 offset:64
	s_waitcnt lgkmcnt(1)
	v_and_b32_e32 v47, 0xffff, v35
	s_and_saveexec_b64 s[2:3], s[8:9]
	s_cbranch_execz .LBB23_41
; %bb.40:                               ;   in Loop: Header=BB23_15 Depth=1
	ds_read_u16 v35, v62
	s_waitcnt lgkmcnt(0)
	v_perm_b32 v47, v35, v47, s71
.LBB23_41:                              ;   in Loop: Header=BB23_15 Depth=1
	s_or_b64 exec, exec, s[2:3]
.LBB23_42:                              ;   in Loop: Header=BB23_15 Depth=1
	s_or_b64 exec, exec, s[0:1]
	s_waitcnt lgkmcnt(0)
	v_mfma_f32_16x16x16_bf16 v[18:21], v[32:33], v[46:47], v[18:21]
	v_mov_b32_e32 v45, 0
	s_and_saveexec_b64 s[0:1], s[26:27]
	s_cbranch_execz .LBB23_46
; %bb.43:                               ;   in Loop: Header=BB23_15 Depth=1
	ds_read_u16 v35, v59 offset:100
	ds_read_b32 v44, v59 offset:96
	s_waitcnt lgkmcnt(1)
	v_and_b32_e32 v45, 0xffff, v35
	s_and_saveexec_b64 s[2:3], s[8:9]
	s_cbranch_execz .LBB23_45
; %bb.44:                               ;   in Loop: Header=BB23_15 Depth=1
	ds_read_u16 v35, v63
	s_waitcnt lgkmcnt(0)
	v_perm_b32 v45, v35, v45, s71
.LBB23_45:                              ;   in Loop: Header=BB23_15 Depth=1
	s_or_b64 exec, exec, s[2:3]
.LBB23_46:                              ;   in Loop: Header=BB23_15 Depth=1
	s_or_b64 exec, exec, s[0:1]
	s_waitcnt lgkmcnt(0)
	v_mfma_f32_16x16x16_bf16 v[42:45], v[30:31], v[44:45], v[18:21]
	s_or_b64 s[34:35], s[28:29], s[12:13]
	s_or_b64 s[30:31], s[28:29], s[10:11]
	;; [unrolled: 1-line block ×4, first 2 shown]
	s_nop 3
	v_cndmask_b32_e64 v20, v43, v83, s[34:35]
	v_cndmask_b32_e64 v37, v42, v83, s[30:31]
	ds_bpermute_b32 v21, v64, v20
	ds_bpermute_b32 v18, v64, v37
	v_max_f32_e32 v35, v20, v20
	v_max_f32_e32 v19, v37, v37
	s_waitcnt lgkmcnt(1)
	v_max_f32_e32 v21, v21, v21
	s_waitcnt lgkmcnt(0)
	v_max_f32_e32 v18, v18, v18
	v_max_f32_e32 v35, v35, v21
	v_max_f32_e32 v18, v19, v18
	ds_bpermute_b32 v42, v65, v35
	ds_bpermute_b32 v19, v65, v18
	v_cndmask_b32_e64 v21, v44, v83, s[36:37]
	ds_bpermute_b32 v44, v64, v21
	s_waitcnt lgkmcnt(2)
	v_max_f32_e32 v42, v42, v42
	s_waitcnt lgkmcnt(1)
	v_max_f32_e32 v19, v19, v19
	v_max_f32_e32 v42, v35, v42
	;; [unrolled: 1-line block ×3, first 2 shown]
	ds_bpermute_b32 v43, v66, v42
	ds_bpermute_b32 v19, v66, v18
	v_cndmask_b32_e64 v35, v45, v83, s[28:29]
	ds_bpermute_b32 v45, v64, v35
	s_waitcnt lgkmcnt(3)
	v_max_f32_e32 v44, v44, v44
	s_waitcnt lgkmcnt(2)
	v_max_f32_e32 v43, v43, v43
	;; [unrolled: 2-line block ×3, first 2 shown]
	v_max_f32_e32 v42, v42, v43
	v_max_f32_e32 v43, v21, v21
	v_max_f32_e32 v18, v18, v19
	v_max_f32_e32 v43, v43, v44
	ds_bpermute_b32 v19, v67, v18
	ds_bpermute_b32 v44, v65, v43
	v_max_f32_e32 v46, v35, v35
	s_waitcnt lgkmcnt(2)
	v_max_f32_e32 v45, v45, v45
	v_max_f32_e32 v45, v46, v45
	ds_bpermute_b32 v46, v65, v45
	s_waitcnt lgkmcnt(2)
	v_max_f32_e32 v19, v19, v19
	s_waitcnt lgkmcnt(1)
	v_max_f32_e32 v44, v44, v44
	v_max_f32_e32 v18, v18, v19
	ds_bpermute_b32 v19, v67, v42
	v_max_f32_e32 v43, v43, v44
	ds_bpermute_b32 v44, v66, v43
	s_waitcnt lgkmcnt(2)
	v_max_f32_e32 v46, v46, v46
	v_max_f32_e32 v45, v45, v46
	ds_bpermute_b32 v46, v66, v45
	s_waitcnt lgkmcnt(2)
	v_max_f32_e32 v19, v19, v19
	v_max_f32_e32 v19, v42, v19
	s_waitcnt lgkmcnt(1)
	v_max_f32_e32 v42, v44, v44
	v_max_f32_e32 v42, v43, v42
	ds_bpermute_b32 v44, v67, v42
	s_waitcnt lgkmcnt(1)
	v_max_f32_e32 v43, v46, v46
	v_max_f32_e32 v45, v45, v43
	ds_bpermute_b32 v46, v67, v45
	ds_bpermute_b32 v43, v53, v19
	s_waitcnt lgkmcnt(2)
	v_max_f32_e32 v19, v44, v44
	v_max_f32_e32 v19, v42, v19
	ds_bpermute_b32 v42, v53, v19
	s_waitcnt lgkmcnt(2)
	v_max_f32_e32 v19, v46, v46
	v_max_f32_e32 v19, v45, v19
	ds_bpermute_b32 v18, v53, v18
	ds_bpermute_b32 v19, v53, v19
	s_and_saveexec_b64 s[0:1], s[6:7]
	s_cbranch_execz .LBB23_49
; %bb.47:                               ;   in Loop: Header=BB23_15 Depth=1
	ds_read_b96 v[44:46], v69
	s_waitcnt lgkmcnt(2)
	v_max_f32_e32 v18, v18, v18
	v_max_f32_e32 v43, v43, v43
	s_waitcnt lgkmcnt(0)
	v_max_f32_e32 v47, v44, v44
	v_max_f32_e32 v85, v45, v45
	;; [unrolled: 1-line block ×7, first 2 shown]
	ds_write_b96 v68, v[44:46]
	ds_write_b96 v69, v[84:86]
	s_and_b64 exec, exec, s[24:25]
	s_cbranch_execz .LBB23_49
; %bb.48:                               ;   in Loop: Header=BB23_15 Depth=1
	ds_read_b32 v18, v71
	v_max_f32_e32 v19, v19, v19
	s_waitcnt lgkmcnt(0)
	ds_write_b32 v70, v18
	v_max_f32_e32 v18, v18, v18
	v_max_f32_e32 v18, v18, v19
	ds_write_b32 v71, v18
.LBB23_49:                              ;   in Loop: Header=BB23_15 Depth=1
	s_or_b64 exec, exec, s[0:1]
	s_waitcnt lgkmcnt(1)
	v_mov_b32_e32 v18, 0
	s_waitcnt lgkmcnt(0)
	v_mov_b32_e32 v19, 0
	s_barrier
	s_and_saveexec_b64 s[0:1], s[26:27]
	s_cbranch_execz .LBB23_51
; %bb.50:                               ;   in Loop: Header=BB23_15 Depth=1
	ds_read_b32 v19, v69
	s_waitcnt lgkmcnt(0)
	v_sub_f32_e32 v37, v37, v19
	v_mul_f32_e32 v37, 0x3fb8aa3b, v37
	v_exp_f32_e32 v37, v37
	v_cmp_lg_f32_e32 vcc, s72, v19
	s_and_b64 vcc, s[4:5], vcc
	s_nop 0
	v_cndmask_b32_e32 v19, 0, v37, vcc
.LBB23_51:                              ;   in Loop: Header=BB23_15 Depth=1
	s_or_b64 exec, exec, s[0:1]
	ds_bpermute_b32 v37, v64, v19
	s_waitcnt lgkmcnt(0)
	v_add_f32_e32 v37, v19, v37
	ds_bpermute_b32 v42, v65, v37
	s_waitcnt lgkmcnt(0)
	v_add_f32_e32 v37, v37, v42
	;; [unrolled: 3-line block ×4, first 2 shown]
	ds_bpermute_b32 v43, v53, v37
	s_and_saveexec_b64 s[0:1], s[26:27]
	s_cbranch_execz .LBB23_53
; %bb.52:                               ;   in Loop: Header=BB23_15 Depth=1
	ds_read_b32 v18, v69 offset:4
	s_waitcnt lgkmcnt(0)
	v_sub_f32_e32 v20, v20, v18
	v_mul_f32_e32 v20, 0x3fb8aa3b, v20
	v_exp_f32_e32 v20, v20
	v_cmp_lg_f32_e32 vcc, s72, v18
	s_and_b64 vcc, s[14:15], vcc
	s_nop 0
	v_cndmask_b32_e32 v18, 0, v20, vcc
.LBB23_53:                              ;   in Loop: Header=BB23_15 Depth=1
	s_or_b64 exec, exec, s[0:1]
	ds_bpermute_b32 v20, v64, v18
	s_waitcnt lgkmcnt(0)
	v_add_f32_e32 v20, v18, v20
	ds_bpermute_b32 v37, v65, v20
	s_waitcnt lgkmcnt(0)
	v_add_f32_e32 v20, v20, v37
	;; [unrolled: 3-line block ×4, first 2 shown]
	ds_bpermute_b32 v42, v53, v20
	v_mov_b32_e32 v20, 0
	s_and_saveexec_b64 s[0:1], s[26:27]
	s_cbranch_execz .LBB23_55
; %bb.54:                               ;   in Loop: Header=BB23_15 Depth=1
	ds_read_b32 v20, v69 offset:8
	s_waitcnt lgkmcnt(0)
	v_sub_f32_e32 v21, v21, v20
	v_mul_f32_e32 v21, 0x3fb8aa3b, v21
	v_exp_f32_e32 v21, v21
	v_cmp_lg_f32_e32 vcc, s72, v20
	s_and_b64 vcc, s[18:19], vcc
	s_nop 0
	v_cndmask_b32_e32 v20, 0, v21, vcc
.LBB23_55:                              ;   in Loop: Header=BB23_15 Depth=1
	s_or_b64 exec, exec, s[0:1]
	ds_bpermute_b32 v21, v64, v20
	v_mov_b32_e32 v44, 0xff800000
	s_waitcnt lgkmcnt(0)
	v_add_f32_e32 v21, v20, v21
	ds_bpermute_b32 v37, v65, v21
	s_waitcnt lgkmcnt(0)
	v_add_f32_e32 v21, v21, v37
	ds_bpermute_b32 v37, v66, v21
	;; [unrolled: 3-line block ×4, first 2 shown]
	s_and_saveexec_b64 s[0:1], s[24:25]
; %bb.56:                               ;   in Loop: Header=BB23_15 Depth=1
	ds_read_b32 v44, v71
; %bb.57:                               ;   in Loop: Header=BB23_15 Depth=1
	s_or_b64 exec, exec, s[0:1]
	v_mov_b32_e32 v21, 0
	s_and_saveexec_b64 s[0:1], s[26:27]
	s_cbranch_execz .LBB23_59
; %bb.58:                               ;   in Loop: Header=BB23_15 Depth=1
	s_waitcnt lgkmcnt(0)
	v_sub_f32_e32 v21, v35, v44
	v_mul_f32_e32 v21, 0x3fb8aa3b, v21
	v_exp_f32_e32 v21, v21
	v_cmp_lg_f32_e32 vcc, s72, v44
	s_and_b64 vcc, s[22:23], vcc
	s_nop 0
	v_cndmask_b32_e32 v21, 0, v21, vcc
.LBB23_59:                              ;   in Loop: Header=BB23_15 Depth=1
	s_or_b64 exec, exec, s[0:1]
	ds_bpermute_b32 v35, v64, v21
	s_waitcnt lgkmcnt(0)
	v_add_f32_e32 v35, v21, v35
	ds_bpermute_b32 v44, v65, v35
	s_waitcnt lgkmcnt(0)
	v_add_f32_e32 v35, v35, v44
	ds_bpermute_b32 v44, v66, v35
	s_waitcnt lgkmcnt(0)
	v_add_f32_e32 v35, v35, v44
	ds_bpermute_b32 v44, v67, v35
	s_waitcnt lgkmcnt(0)
	v_add_f32_e32 v35, v35, v44
	ds_bpermute_b32 v35, v53, v35
	s_and_saveexec_b64 s[2:3], s[6:7]
	s_cbranch_execz .LBB23_96
; %bb.60:                               ;   in Loop: Header=BB23_15 Depth=1
	s_and_saveexec_b64 s[0:1], s[10:11]
	s_xor_b64 s[0:1], exec, s[0:1]
	s_cbranch_execnz .LBB23_78
; %bb.61:                               ;   in Loop: Header=BB23_15 Depth=1
	s_andn2_saveexec_b64 s[26:27], s[0:1]
	s_cbranch_execnz .LBB23_79
.LBB23_62:                              ;   in Loop: Header=BB23_15 Depth=1
	s_or_b64 exec, exec, s[26:27]
	s_and_saveexec_b64 s[0:1], s[12:13]
	s_xor_b64 s[0:1], exec, s[0:1]
	s_cbranch_execnz .LBB23_82
.LBB23_63:                              ;   in Loop: Header=BB23_15 Depth=1
	s_andn2_saveexec_b64 s[26:27], s[0:1]
	s_cbranch_execnz .LBB23_83
.LBB23_64:                              ;   in Loop: Header=BB23_15 Depth=1
	s_or_b64 exec, exec, s[26:27]
	s_and_saveexec_b64 s[0:1], s[16:17]
	s_xor_b64 s[0:1], exec, s[0:1]
	s_cbranch_execnz .LBB23_86
.LBB23_65:                              ;   in Loop: Header=BB23_15 Depth=1
	s_andn2_saveexec_b64 s[26:27], s[0:1]
	s_cbranch_execnz .LBB23_87
.LBB23_66:                              ;   in Loop: Header=BB23_15 Depth=1
	s_or_b64 exec, exec, s[26:27]
	s_and_saveexec_b64 s[0:1], s[20:21]
	s_xor_b64 s[0:1], exec, s[0:1]
	s_cbranch_execnz .LBB23_90
.LBB23_67:                              ;   in Loop: Header=BB23_15 Depth=1
	s_andn2_saveexec_b64 s[0:1], s[0:1]
	s_cbranch_execnz .LBB23_93
	s_branch .LBB23_96
.LBB23_68:                              ;   in Loop: Header=BB23_15 Depth=1
	s_andn2_b64 vcc, exec, s[52:53]
	v_add_u32_e32 v18, s74, v48
	s_cbranch_vccnz .LBB23_76
; %bb.69:                               ;   in Loop: Header=BB23_15 Depth=1
	s_mov_b64 s[2:3], -1
	s_and_b64 vcc, exec, s[54:55]
                                        ; implicit-def: $vgpr19
	s_cbranch_vccz .LBB23_73
; %bb.70:                               ;   in Loop: Header=BB23_15 Depth=1
	v_cmp_le_i32_e32 vcc, s62, v18
	v_mov_b32_e32 v19, v18
	s_and_saveexec_b64 s[2:3], vcc
	s_cbranch_execz .LBB23_72
; %bb.71:                               ;   in Loop: Header=BB23_15 Depth=1
	v_sub_u32_e32 v20, 0, v18
	v_max_i32_e32 v20, v18, v20
	v_mul_hi_u32 v21, v20, v79
	v_mul_lo_u32 v21, v21, s48
	v_sub_u32_e32 v20, v20, v21
	v_subrev_u32_e32 v21, s48, v20
	v_cmp_le_u32_e32 vcc, s48, v20
	v_ashrrev_i32_e32 v19, 31, v18
	s_nop 0
	v_cndmask_b32_e32 v20, v20, v21, vcc
	v_subrev_u32_e32 v21, s48, v20
	v_cmp_le_u32_e32 vcc, s48, v20
	s_nop 1
	v_cndmask_b32_e32 v20, v20, v21, vcc
	v_xor_b32_e32 v20, v20, v19
	v_sub_u32_e32 v19, v20, v19
.LBB23_72:                              ;   in Loop: Header=BB23_15 Depth=1
	s_or_b64 exec, exec, s[2:3]
	s_mov_b64 s[2:3], 0
.LBB23_73:                              ;   in Loop: Header=BB23_15 Depth=1
	s_andn2_b64 vcc, exec, s[2:3]
	s_cbranch_vccnz .LBB23_75
; %bb.74:                               ;   in Loop: Header=BB23_15 Depth=1
	v_and_b32_e32 v19, s67, v18
.LBB23_75:                              ;   in Loop: Header=BB23_15 Depth=1
	v_mov_b32_e32 v18, v19
.LBB23_76:                              ;   in Loop: Header=BB23_15 Depth=1
	s_and_b64 s[2:3], s[40:41], exec
	s_andn2_saveexec_b64 s[0:1], s[0:1]
	s_cbranch_execz .LBB23_17
.LBB23_77:                              ;   in Loop: Header=BB23_15 Depth=1
	s_andn2_b64 s[2:3], s[2:3], exec
	s_and_b64 s[30:31], s[40:41], exec
	v_mov_b32_e32 v18, 0
	s_or_b64 s[2:3], s[2:3], s[30:31]
	s_or_b64 exec, exec, s[0:1]
	s_and_saveexec_b64 s[0:1], s[2:3]
	s_cbranch_execnz .LBB23_18
	s_branch .LBB23_19
.LBB23_78:                              ;   in Loop: Header=BB23_15 Depth=1
	ds_write_b32 v81, v36
	ds_write_b32 v80, v36
                                        ; implicit-def: $vgpr43
	s_andn2_saveexec_b64 s[26:27], s[0:1]
	s_cbranch_execz .LBB23_62
.LBB23_79:                              ;   in Loop: Header=BB23_15 Depth=1
	ds_read_b32 v46, v68
	ds_read_b32 v44, v82
	v_mov_b32_e32 v45, 0
	s_waitcnt lgkmcnt(1)
	v_cmp_neq_f32_e32 vcc, s72, v46
	s_and_saveexec_b64 s[0:1], vcc
	s_cbranch_execz .LBB23_81
; %bb.80:                               ;   in Loop: Header=BB23_15 Depth=1
	ds_read_b32 v45, v69
	s_waitcnt lgkmcnt(0)
	v_sub_f32_e32 v45, v46, v45
	v_mul_f32_e32 v45, 0x3fb8aa3b, v45
	v_exp_f32_e32 v45, v45
.LBB23_81:                              ;   in Loop: Header=BB23_15 Depth=1
	s_or_b64 exec, exec, s[0:1]
	s_waitcnt lgkmcnt(0)
	v_mul_f32_e32 v46, v44, v45
	v_fmac_f32_e32 v43, v44, v45
	v_div_scale_f32 v44, s[0:1], v43, v43, v46
	v_rcp_f32_e32 v45, v44
	s_nop 0
	v_fma_f32 v47, -v44, v45, 1.0
	v_fmac_f32_e32 v45, v47, v45
	v_div_scale_f32 v47, vcc, v46, v43, v46
	v_mul_f32_e32 v84, v47, v45
	v_fma_f32 v85, -v44, v84, v47
	v_fmac_f32_e32 v84, v85, v45
	v_fma_f32 v44, -v44, v84, v47
	v_div_fmas_f32 v44, v44, v45, v84
	v_div_scale_f32 v45, s[0:1], v43, v43, 1.0
	v_rcp_f32_e32 v47, v45
	v_div_fixup_f32 v44, v44, v43, v46
	v_cmp_lt_f32_e64 s[0:1], 0, v43
	v_fma_f32 v46, -v45, v47, 1.0
	v_fmac_f32_e32 v47, v46, v47
	v_div_scale_f32 v46, vcc, 1.0, v43, 1.0
	v_mul_f32_e32 v84, v46, v47
	v_fma_f32 v85, -v45, v84, v46
	v_fmac_f32_e32 v84, v85, v47
	v_fma_f32 v45, -v45, v84, v46
	v_div_fmas_f32 v45, v45, v47, v84
	v_cndmask_b32_e64 v44, 0, v44, s[0:1]
	v_div_fixup_f32 v45, v45, v43, 1.0
	v_cndmask_b32_e64 v45, 0, v45, s[0:1]
	ds_write_b32 v81, v44
	ds_write_b32 v80, v45
	;; [unrolled: 1-line block ×3, first 2 shown]
	s_or_b64 exec, exec, s[26:27]
	s_and_saveexec_b64 s[0:1], s[12:13]
	s_xor_b64 s[0:1], exec, s[0:1]
	s_cbranch_execz .LBB23_63
.LBB23_82:                              ;   in Loop: Header=BB23_15 Depth=1
	ds_write_b32 v81, v36 offset:4
	ds_write_b32 v80, v36 offset:4
                                        ; implicit-def: $vgpr42
	s_andn2_saveexec_b64 s[26:27], s[0:1]
	s_cbranch_execz .LBB23_64
.LBB23_83:                              ;   in Loop: Header=BB23_15 Depth=1
	ds_read_b32 v45, v68 offset:4
	ds_read_b32 v43, v82 offset:4
	v_mov_b32_e32 v44, 0
	s_waitcnt lgkmcnt(1)
	v_cmp_neq_f32_e32 vcc, s72, v45
	s_and_saveexec_b64 s[0:1], vcc
	s_cbranch_execz .LBB23_85
; %bb.84:                               ;   in Loop: Header=BB23_15 Depth=1
	ds_read_b32 v44, v69 offset:4
	s_waitcnt lgkmcnt(0)
	v_sub_f32_e32 v44, v45, v44
	v_mul_f32_e32 v44, 0x3fb8aa3b, v44
	v_exp_f32_e32 v44, v44
.LBB23_85:                              ;   in Loop: Header=BB23_15 Depth=1
	s_or_b64 exec, exec, s[0:1]
	s_waitcnt lgkmcnt(0)
	v_mul_f32_e32 v45, v43, v44
	v_fmac_f32_e32 v42, v43, v44
	v_div_scale_f32 v43, s[0:1], v42, v42, v45
	v_rcp_f32_e32 v44, v43
	s_nop 0
	v_fma_f32 v46, -v43, v44, 1.0
	v_fmac_f32_e32 v44, v46, v44
	v_div_scale_f32 v46, vcc, v45, v42, v45
	v_mul_f32_e32 v47, v46, v44
	v_fma_f32 v84, -v43, v47, v46
	v_fmac_f32_e32 v47, v84, v44
	v_fma_f32 v43, -v43, v47, v46
	v_div_fmas_f32 v43, v43, v44, v47
	v_div_scale_f32 v44, s[0:1], v42, v42, 1.0
	v_rcp_f32_e32 v46, v44
	v_div_fixup_f32 v43, v43, v42, v45
	v_cmp_lt_f32_e64 s[0:1], 0, v42
	v_fma_f32 v45, -v44, v46, 1.0
	v_fmac_f32_e32 v46, v45, v46
	v_div_scale_f32 v45, vcc, 1.0, v42, 1.0
	v_mul_f32_e32 v47, v45, v46
	v_fma_f32 v84, -v44, v47, v45
	v_fmac_f32_e32 v47, v84, v46
	v_fma_f32 v44, -v44, v47, v45
	v_div_fmas_f32 v44, v44, v46, v47
	v_cndmask_b32_e64 v43, 0, v43, s[0:1]
	v_div_fixup_f32 v44, v44, v42, 1.0
	v_cndmask_b32_e64 v44, 0, v44, s[0:1]
	ds_write_b32 v81, v43 offset:4
	ds_write_b32 v80, v44 offset:4
	;; [unrolled: 1-line block ×3, first 2 shown]
	s_or_b64 exec, exec, s[26:27]
	s_and_saveexec_b64 s[0:1], s[16:17]
	s_xor_b64 s[0:1], exec, s[0:1]
	s_cbranch_execz .LBB23_65
.LBB23_86:                              ;   in Loop: Header=BB23_15 Depth=1
	ds_write_b32 v81, v36 offset:8
	ds_write_b32 v80, v36 offset:8
                                        ; implicit-def: $vgpr37
	s_andn2_saveexec_b64 s[26:27], s[0:1]
	s_cbranch_execz .LBB23_66
.LBB23_87:                              ;   in Loop: Header=BB23_15 Depth=1
	ds_read_b32 v44, v68 offset:8
	ds_read_b32 v42, v82 offset:8
	v_mov_b32_e32 v43, 0
	s_waitcnt lgkmcnt(1)
	v_cmp_neq_f32_e32 vcc, s72, v44
	s_and_saveexec_b64 s[0:1], vcc
	s_cbranch_execz .LBB23_89
; %bb.88:                               ;   in Loop: Header=BB23_15 Depth=1
	ds_read_b32 v43, v69 offset:8
	s_waitcnt lgkmcnt(0)
	v_sub_f32_e32 v43, v44, v43
	v_mul_f32_e32 v43, 0x3fb8aa3b, v43
	v_exp_f32_e32 v43, v43
.LBB23_89:                              ;   in Loop: Header=BB23_15 Depth=1
	s_or_b64 exec, exec, s[0:1]
	s_waitcnt lgkmcnt(0)
	v_mul_f32_e32 v44, v42, v43
	v_fmac_f32_e32 v37, v42, v43
	v_div_scale_f32 v42, s[0:1], v37, v37, v44
	v_rcp_f32_e32 v43, v42
	s_nop 0
	v_fma_f32 v45, -v42, v43, 1.0
	v_fmac_f32_e32 v43, v45, v43
	v_div_scale_f32 v45, vcc, v44, v37, v44
	v_mul_f32_e32 v46, v45, v43
	v_fma_f32 v47, -v42, v46, v45
	v_fmac_f32_e32 v46, v47, v43
	v_fma_f32 v42, -v42, v46, v45
	v_div_fmas_f32 v42, v42, v43, v46
	v_div_scale_f32 v43, s[0:1], v37, v37, 1.0
	v_rcp_f32_e32 v45, v43
	v_div_fixup_f32 v42, v42, v37, v44
	v_cmp_lt_f32_e64 s[0:1], 0, v37
	v_fma_f32 v44, -v43, v45, 1.0
	v_fmac_f32_e32 v45, v44, v45
	v_div_scale_f32 v44, vcc, 1.0, v37, 1.0
	v_mul_f32_e32 v46, v44, v45
	v_fma_f32 v47, -v43, v46, v44
	v_fmac_f32_e32 v46, v47, v45
	v_fma_f32 v43, -v43, v46, v44
	v_div_fmas_f32 v43, v43, v45, v46
	v_cndmask_b32_e64 v42, 0, v42, s[0:1]
	v_div_fixup_f32 v43, v43, v37, 1.0
	v_cndmask_b32_e64 v43, 0, v43, s[0:1]
	ds_write_b32 v81, v42 offset:8
	ds_write_b32 v80, v43 offset:8
	;; [unrolled: 1-line block ×3, first 2 shown]
	s_or_b64 exec, exec, s[26:27]
	s_and_saveexec_b64 s[0:1], s[20:21]
	s_xor_b64 s[0:1], exec, s[0:1]
	s_cbranch_execz .LBB23_67
.LBB23_90:                              ;   in Loop: Header=BB23_15 Depth=1
	s_and_saveexec_b64 s[26:27], s[24:25]
	s_cbranch_execz .LBB23_92
; %bb.91:                               ;   in Loop: Header=BB23_15 Depth=1
	ds_write_b32 v73, v36
	ds_write_b32 v72, v36
.LBB23_92:                              ;   in Loop: Header=BB23_15 Depth=1
	s_or_b64 exec, exec, s[26:27]
                                        ; implicit-def: $vgpr35
	s_andn2_saveexec_b64 s[0:1], s[0:1]
	s_cbranch_execz .LBB23_96
.LBB23_93:                              ;   in Loop: Header=BB23_15 Depth=1
	ds_read_b32 v43, v70
	ds_read_b32 v37, v74
	v_mov_b32_e32 v42, 0
	s_waitcnt lgkmcnt(1)
	v_cmp_neq_f32_e32 vcc, s72, v43
	s_and_saveexec_b64 s[0:1], vcc
	s_cbranch_execz .LBB23_95
; %bb.94:                               ;   in Loop: Header=BB23_15 Depth=1
	ds_read_b32 v42, v71
	s_waitcnt lgkmcnt(0)
	v_sub_f32_e32 v42, v43, v42
	v_mul_f32_e32 v42, 0x3fb8aa3b, v42
	v_exp_f32_e32 v42, v42
.LBB23_95:                              ;   in Loop: Header=BB23_15 Depth=1
	s_or_b64 exec, exec, s[0:1]
	s_waitcnt lgkmcnt(0)
	v_mul_f32_e32 v43, v37, v42
	v_fmac_f32_e32 v35, v37, v42
	v_div_scale_f32 v37, s[0:1], v35, v35, v43
	v_rcp_f32_e32 v42, v37
	s_nop 0
	v_fma_f32 v44, -v37, v42, 1.0
	v_fmac_f32_e32 v42, v44, v42
	v_div_scale_f32 v44, vcc, v43, v35, v43
	v_mul_f32_e32 v45, v44, v42
	v_fma_f32 v46, -v37, v45, v44
	v_fmac_f32_e32 v45, v46, v42
	v_fma_f32 v37, -v37, v45, v44
	v_div_fmas_f32 v37, v37, v42, v45
	v_div_scale_f32 v42, s[0:1], v35, v35, 1.0
	v_rcp_f32_e32 v44, v42
	v_div_fixup_f32 v37, v37, v35, v43
	v_cmp_lt_f32_e64 s[0:1], 0, v35
	v_fma_f32 v43, -v42, v44, 1.0
	v_fmac_f32_e32 v44, v43, v44
	v_div_scale_f32 v43, vcc, 1.0, v35, 1.0
	v_mul_f32_e32 v45, v43, v44
	v_fma_f32 v46, -v42, v45, v43
	v_fmac_f32_e32 v45, v46, v44
	v_fma_f32 v42, -v42, v45, v43
	v_div_fmas_f32 v42, v42, v44, v45
	v_cndmask_b32_e64 v37, 0, v37, s[0:1]
	v_div_fixup_f32 v42, v42, v35, 1.0
	v_cndmask_b32_e64 v42, 0, v42, s[0:1]
	ds_write_b32 v73, v37
	ds_write_b32 v72, v42
	;; [unrolled: 1-line block ×3, first 2 shown]
.LBB23_96:                              ;   in Loop: Header=BB23_15 Depth=1
	s_or_b64 exec, exec, s[2:3]
	s_xor_b64 s[30:31], s[30:31], -1
	s_xor_b64 s[26:27], s[34:35], -1
	;; [unrolled: 1-line block ×4, first 2 shown]
	s_waitcnt lgkmcnt(0)
	v_mov_b32_e32 v35, 0
	v_mov_b32_e32 v84, 0
	s_barrier
	s_and_saveexec_b64 s[28:29], s[4:5]
; %bb.97:                               ;   in Loop: Header=BB23_15 Depth=1
	ds_read_b32 v84, v81
; %bb.98:                               ;   in Loop: Header=BB23_15 Depth=1
	s_or_b64 exec, exec, s[28:29]
	s_and_saveexec_b64 s[28:29], s[30:31]
	s_cbranch_execz .LBB23_100
; %bb.99:                               ;   in Loop: Header=BB23_15 Depth=1
	ds_read_b32 v35, v80
	s_waitcnt lgkmcnt(0)
	v_mul_f32_e32 v19, v19, v35
	v_cvt_pk_bf16_f32 v35, v19, s0
.LBB23_100:                             ;   in Loop: Header=BB23_15 Depth=1
	s_or_b64 exec, exec, s[28:29]
	ds_write_b16 v75, v35
	v_mov_b32_e32 v19, 0
	v_mov_b32_e32 v35, 0
	s_and_saveexec_b64 s[28:29], s[14:15]
; %bb.101:                              ;   in Loop: Header=BB23_15 Depth=1
	ds_read_b32 v35, v81 offset:4
; %bb.102:                              ;   in Loop: Header=BB23_15 Depth=1
	s_or_b64 exec, exec, s[28:29]
	s_and_saveexec_b64 s[28:29], s[26:27]
	s_cbranch_execz .LBB23_104
; %bb.103:                              ;   in Loop: Header=BB23_15 Depth=1
	ds_read_b32 v19, v80 offset:4
	s_waitcnt lgkmcnt(0)
	v_mul_f32_e32 v18, v18, v19
	v_cvt_pk_bf16_f32 v19, v18, s0
.LBB23_104:                             ;   in Loop: Header=BB23_15 Depth=1
	s_or_b64 exec, exec, s[28:29]
	v_mov_b32_e32 v18, 0
	v_mov_b32_e32 v85, 0
	ds_write_b16 v75, v19 offset:32
	s_and_saveexec_b64 s[26:27], s[18:19]
; %bb.105:                              ;   in Loop: Header=BB23_15 Depth=1
	ds_read_b32 v85, v81 offset:8
; %bb.106:                              ;   in Loop: Header=BB23_15 Depth=1
	s_or_b64 exec, exec, s[26:27]
	s_and_saveexec_b64 s[26:27], s[2:3]
	s_cbranch_execz .LBB23_108
; %bb.107:                              ;   in Loop: Header=BB23_15 Depth=1
	ds_read_b32 v18, v80 offset:8
	s_waitcnt lgkmcnt(0)
	v_mul_f32_e32 v18, v20, v18
	v_cvt_pk_bf16_f32 v18, v18, s0
.LBB23_108:                             ;   in Loop: Header=BB23_15 Depth=1
	s_or_b64 exec, exec, s[26:27]
	ds_write_b16 v75, v18 offset:64
	v_mov_b32_e32 v18, 0
	v_mov_b32_e32 v86, 0
	s_and_saveexec_b64 s[2:3], s[22:23]
	s_cbranch_execnz .LBB23_138
; %bb.109:                              ;   in Loop: Header=BB23_15 Depth=1
	s_or_b64 exec, exec, s[2:3]
	s_and_saveexec_b64 s[2:3], s[0:1]
	s_cbranch_execnz .LBB23_139
.LBB23_110:                             ;   in Loop: Header=BB23_15 Depth=1
	s_or_b64 exec, exec, s[2:3]
	s_and_saveexec_b64 s[0:1], s[24:25]
.LBB23_111:                             ;   in Loop: Header=BB23_15 Depth=1
	ds_write_b16 v76, v18
.LBB23_112:                             ;   in Loop: Header=BB23_15 Depth=1
	s_or_b64 exec, exec, s[0:1]
	v_mov_b32_e32 v37, v36
	v_mov_b64_e32 v[18:19], v[36:37]
	s_waitcnt lgkmcnt(0)
	s_barrier
	s_and_saveexec_b64 s[0:1], s[38:39]
	s_cbranch_execz .LBB23_119
; %bb.113:                              ;   in Loop: Header=BB23_15 Depth=1
	v_mov_b32_e32 v37, v36
	v_cmp_gt_u32_e32 vcc, s75, v49
	v_mov_b64_e32 v[18:19], v[36:37]
	s_and_saveexec_b64 s[2:3], vcc
	s_cbranch_execnz .LBB23_153
; %bb.114:                              ;   in Loop: Header=BB23_15 Depth=1
	s_or_b64 exec, exec, s[2:3]
	v_cmp_gt_u32_e32 vcc, s76, v51
	s_and_saveexec_b64 s[2:3], vcc
	s_cbranch_execnz .LBB23_154
.LBB23_115:                             ;   in Loop: Header=BB23_15 Depth=1
	s_or_b64 exec, exec, s[2:3]
	v_cmp_gt_u32_e32 vcc, s76, v50
	s_and_saveexec_b64 s[2:3], vcc
	s_cbranch_execnz .LBB23_155
.LBB23_116:                             ;   in Loop: Header=BB23_15 Depth=1
	s_or_b64 exec, exec, s[2:3]
	v_cmp_gt_u32_e32 vcc, s76, v25
	s_and_saveexec_b64 s[2:3], vcc
	s_cbranch_execz .LBB23_118
.LBB23_117:                             ;   in Loop: Header=BB23_15 Depth=1
	ds_read_u16 v20, v78
	s_waitcnt lgkmcnt(0)
	v_perm_b32 v19, v20, v19, s71
.LBB23_118:                             ;   in Loop: Header=BB23_15 Depth=1
	s_or_b64 exec, exec, s[2:3]
.LBB23_119:                             ;   in Loop: Header=BB23_15 Depth=1
	s_or_b64 exec, exec, s[0:1]
	v_mov_b32_e32 v37, v36
	v_cmp_gt_u32_e32 vcc, s75, v49
	v_mov_b64_e32 v[20:21], v[36:37]
	s_and_saveexec_b64 s[0:1], vcc
	s_cbranch_execnz .LBB23_140
; %bb.120:                              ;   in Loop: Header=BB23_15 Depth=1
	s_or_b64 exec, exec, s[0:1]
	v_cmp_gt_u32_e64 s[0:1], s76, v51
	s_and_saveexec_b64 s[2:3], s[0:1]
	s_cbranch_execnz .LBB23_141
.LBB23_121:                             ;   in Loop: Header=BB23_15 Depth=1
	s_or_b64 exec, exec, s[2:3]
	v_cmp_gt_u32_e64 s[2:3], s76, v50
	s_and_saveexec_b64 s[26:27], s[2:3]
	s_cbranch_execnz .LBB23_142
.LBB23_122:                             ;   in Loop: Header=BB23_15 Depth=1
	s_or_b64 exec, exec, s[26:27]
	v_cmp_gt_u32_e64 s[26:27], s76, v25
	s_and_saveexec_b64 s[28:29], s[26:27]
	s_cbranch_execz .LBB23_124
.LBB23_123:                             ;   in Loop: Header=BB23_15 Depth=1
	ds_read_u16 v37, v55
	s_waitcnt lgkmcnt(0)
	v_perm_b32 v21, v37, v21, s71
.LBB23_124:                             ;   in Loop: Header=BB23_15 Depth=1
	s_or_b64 exec, exec, s[28:29]
	v_mov_b32_e32 v37, v36
	v_mov_b64_e32 v[42:43], v[36:37]
	s_and_saveexec_b64 s[28:29], vcc
	s_cbranch_execnz .LBB23_143
; %bb.125:                              ;   in Loop: Header=BB23_15 Depth=1
	s_or_b64 exec, exec, s[28:29]
	s_and_saveexec_b64 s[28:29], s[0:1]
	s_cbranch_execnz .LBB23_144
.LBB23_126:                             ;   in Loop: Header=BB23_15 Depth=1
	s_or_b64 exec, exec, s[28:29]
	s_and_saveexec_b64 s[28:29], s[2:3]
	s_cbranch_execnz .LBB23_145
.LBB23_127:                             ;   in Loop: Header=BB23_15 Depth=1
	s_or_b64 exec, exec, s[28:29]
	s_and_saveexec_b64 s[28:29], s[26:27]
	s_cbranch_execz .LBB23_129
.LBB23_128:                             ;   in Loop: Header=BB23_15 Depth=1
	ds_read_u16 v37, v55 offset:512
	s_waitcnt lgkmcnt(0)
	v_perm_b32 v43, v37, v43, s71
.LBB23_129:                             ;   in Loop: Header=BB23_15 Depth=1
	s_or_b64 exec, exec, s[28:29]
	v_mov_b32_e32 v37, v36
	v_mov_b64_e32 v[44:45], v[36:37]
	s_and_saveexec_b64 s[28:29], vcc
	s_cbranch_execnz .LBB23_146
; %bb.130:                              ;   in Loop: Header=BB23_15 Depth=1
	s_or_b64 exec, exec, s[28:29]
	s_and_saveexec_b64 s[28:29], s[0:1]
	s_cbranch_execnz .LBB23_147
.LBB23_131:                             ;   in Loop: Header=BB23_15 Depth=1
	s_or_b64 exec, exec, s[28:29]
	s_and_saveexec_b64 s[28:29], s[2:3]
	s_cbranch_execnz .LBB23_148
.LBB23_132:                             ;   in Loop: Header=BB23_15 Depth=1
	s_or_b64 exec, exec, s[28:29]
	s_and_saveexec_b64 s[28:29], s[26:27]
	s_cbranch_execz .LBB23_134
.LBB23_133:                             ;   in Loop: Header=BB23_15 Depth=1
	ds_read_u16 v37, v55 offset:1024
	s_waitcnt lgkmcnt(0)
	v_perm_b32 v45, v37, v45, s71
.LBB23_134:                             ;   in Loop: Header=BB23_15 Depth=1
	s_or_b64 exec, exec, s[28:29]
	v_mov_b32_e32 v37, v36
	v_mov_b64_e32 v[46:47], v[36:37]
	s_and_saveexec_b64 s[28:29], vcc
	s_cbranch_execnz .LBB23_149
; %bb.135:                              ;   in Loop: Header=BB23_15 Depth=1
	s_or_b64 exec, exec, s[28:29]
	s_and_saveexec_b64 s[28:29], s[0:1]
	s_cbranch_execnz .LBB23_150
.LBB23_136:                             ;   in Loop: Header=BB23_15 Depth=1
	s_or_b64 exec, exec, s[28:29]
	s_and_saveexec_b64 s[0:1], s[2:3]
	s_cbranch_execnz .LBB23_151
.LBB23_137:                             ;   in Loop: Header=BB23_15 Depth=1
	s_or_b64 exec, exec, s[0:1]
	s_and_saveexec_b64 s[0:1], s[26:27]
	s_cbranch_execz .LBB23_14
	s_branch .LBB23_152
.LBB23_138:                             ;   in Loop: Header=BB23_15 Depth=1
	ds_read_b32 v86, v73
	s_or_b64 exec, exec, s[2:3]
	s_and_saveexec_b64 s[2:3], s[0:1]
	s_cbranch_execz .LBB23_110
.LBB23_139:                             ;   in Loop: Header=BB23_15 Depth=1
	ds_read_b32 v18, v72
	s_waitcnt lgkmcnt(0)
	v_mul_f32_e32 v18, v21, v18
	v_cvt_pk_bf16_f32 v18, v18, s0
	s_or_b64 exec, exec, s[2:3]
	s_and_saveexec_b64 s[0:1], s[24:25]
	s_cbranch_execnz .LBB23_111
	s_branch .LBB23_112
.LBB23_140:                             ;   in Loop: Header=BB23_15 Depth=1
	ds_read_u16 v20, v54
	v_mov_b32_e32 v21, v36
	s_waitcnt lgkmcnt(0)
	v_and_b32_e32 v20, 0xffff, v20
	s_or_b64 exec, exec, s[0:1]
	v_cmp_gt_u32_e64 s[0:1], s76, v51
	s_and_saveexec_b64 s[2:3], s[0:1]
	s_cbranch_execz .LBB23_121
.LBB23_141:                             ;   in Loop: Header=BB23_15 Depth=1
	ds_read_u16 v37, v54 offset:2
	s_waitcnt lgkmcnt(0)
	v_perm_b32 v20, v37, v20, s71
	s_or_b64 exec, exec, s[2:3]
	v_cmp_gt_u32_e64 s[2:3], s76, v50
	s_and_saveexec_b64 s[26:27], s[2:3]
	s_cbranch_execz .LBB23_122
.LBB23_142:                             ;   in Loop: Header=BB23_15 Depth=1
	ds_read_u16 v37, v54 offset:4
	s_waitcnt lgkmcnt(0)
	v_bfi_b32 v21, s73, v37, v21
	s_or_b64 exec, exec, s[26:27]
	v_cmp_gt_u32_e64 s[26:27], s76, v25
	s_and_saveexec_b64 s[28:29], s[26:27]
	s_cbranch_execnz .LBB23_123
	s_branch .LBB23_124
.LBB23_143:                             ;   in Loop: Header=BB23_15 Depth=1
	ds_read_u16 v37, v54 offset:512
	v_mov_b32_e32 v43, v36
	s_waitcnt lgkmcnt(0)
	v_and_b32_e32 v42, 0xffff, v37
	s_or_b64 exec, exec, s[28:29]
	s_and_saveexec_b64 s[28:29], s[0:1]
	s_cbranch_execz .LBB23_126
.LBB23_144:                             ;   in Loop: Header=BB23_15 Depth=1
	ds_read_u16 v37, v54 offset:514
	s_waitcnt lgkmcnt(0)
	v_perm_b32 v42, v37, v42, s71
	s_or_b64 exec, exec, s[28:29]
	s_and_saveexec_b64 s[28:29], s[2:3]
	s_cbranch_execz .LBB23_127
.LBB23_145:                             ;   in Loop: Header=BB23_15 Depth=1
	ds_read_u16 v37, v54 offset:516
	s_waitcnt lgkmcnt(0)
	v_bfi_b32 v43, s73, v37, v43
	s_or_b64 exec, exec, s[28:29]
	s_and_saveexec_b64 s[28:29], s[26:27]
	s_cbranch_execnz .LBB23_128
	s_branch .LBB23_129
.LBB23_146:                             ;   in Loop: Header=BB23_15 Depth=1
	ds_read_u16 v37, v54 offset:1024
	v_mov_b32_e32 v45, v36
	s_waitcnt lgkmcnt(0)
	v_and_b32_e32 v44, 0xffff, v37
	s_or_b64 exec, exec, s[28:29]
	s_and_saveexec_b64 s[28:29], s[0:1]
	s_cbranch_execz .LBB23_131
.LBB23_147:                             ;   in Loop: Header=BB23_15 Depth=1
	ds_read_u16 v37, v54 offset:1026
	s_waitcnt lgkmcnt(0)
	v_perm_b32 v44, v37, v44, s71
	s_or_b64 exec, exec, s[28:29]
	s_and_saveexec_b64 s[28:29], s[2:3]
	s_cbranch_execz .LBB23_132
.LBB23_148:                             ;   in Loop: Header=BB23_15 Depth=1
	ds_read_u16 v37, v54 offset:1028
	s_waitcnt lgkmcnt(0)
	v_bfi_b32 v45, s73, v37, v45
	s_or_b64 exec, exec, s[28:29]
	s_and_saveexec_b64 s[28:29], s[26:27]
	s_cbranch_execnz .LBB23_133
	s_branch .LBB23_134
.LBB23_149:                             ;   in Loop: Header=BB23_15 Depth=1
	ds_read_u16 v37, v56
	v_mov_b32_e32 v47, v36
	s_waitcnt lgkmcnt(0)
	v_and_b32_e32 v46, 0xffff, v37
	s_or_b64 exec, exec, s[28:29]
	s_and_saveexec_b64 s[28:29], s[0:1]
	s_cbranch_execz .LBB23_136
.LBB23_150:                             ;   in Loop: Header=BB23_15 Depth=1
	ds_read_u16 v37, v56 offset:2
	s_waitcnt lgkmcnt(0)
	v_perm_b32 v46, v37, v46, s71
	s_or_b64 exec, exec, s[28:29]
	s_and_saveexec_b64 s[0:1], s[2:3]
	s_cbranch_execz .LBB23_137
.LBB23_151:                             ;   in Loop: Header=BB23_15 Depth=1
	ds_read_u16 v37, v56 offset:4
	s_waitcnt lgkmcnt(0)
	v_bfi_b32 v47, s73, v37, v47
	s_or_b64 exec, exec, s[0:1]
	s_and_saveexec_b64 s[0:1], s[26:27]
	s_cbranch_execz .LBB23_14
.LBB23_152:                             ;   in Loop: Header=BB23_15 Depth=1
	ds_read_u16 v37, v57
	s_waitcnt lgkmcnt(0)
	v_perm_b32 v47, v37, v47, s71
	s_branch .LBB23_14
.LBB23_153:                             ;   in Loop: Header=BB23_15 Depth=1
	ds_read_u16 v18, v77
	v_mov_b32_e32 v19, v36
	s_waitcnt lgkmcnt(0)
	v_and_b32_e32 v18, 0xffff, v18
	s_or_b64 exec, exec, s[2:3]
	v_cmp_gt_u32_e32 vcc, s76, v51
	s_and_saveexec_b64 s[2:3], vcc
	s_cbranch_execz .LBB23_115
.LBB23_154:                             ;   in Loop: Header=BB23_15 Depth=1
	ds_read_u16 v20, v77 offset:2
	s_waitcnt lgkmcnt(0)
	v_perm_b32 v18, v20, v18, s71
	s_or_b64 exec, exec, s[2:3]
	v_cmp_gt_u32_e32 vcc, s76, v50
	s_and_saveexec_b64 s[2:3], vcc
	s_cbranch_execz .LBB23_116
.LBB23_155:                             ;   in Loop: Header=BB23_15 Depth=1
	ds_read_u16 v20, v77 offset:4
	s_waitcnt lgkmcnt(0)
	v_bfi_b32 v19, s73, v20, v19
	s_or_b64 exec, exec, s[2:3]
	v_cmp_gt_u32_e32 vcc, s76, v25
	s_and_saveexec_b64 s[2:3], vcc
	s_cbranch_execnz .LBB23_117
	s_branch .LBB23_118
.LBB23_156:
	v_mov_b32_e32 v14, 0
	v_mov_b32_e32 v15, v14
	;; [unrolled: 1-line block ×4, first 2 shown]
	v_mov_b64_e32 v[2:3], v[14:15]
	v_mov_b64_e32 v[6:7], v[14:15]
	;; [unrolled: 1-line block ×6, first 2 shown]
.LBB23_157:
	s_lshl_b64 s[0:1], s[50:51], 6
	s_waitcnt lgkmcnt(0)
	s_cmp_lg_u64 s[44:45], 0
	s_cbranch_scc0 .LBB23_199
; %bb.158:
	v_cmp_eq_u32_e32 vcc, 0, v48
	s_and_saveexec_b64 s[2:3], vcc
	s_cbranch_execz .LBB23_196
; %bb.159:
	v_cmp_le_u32_e32 vcc, s49, v49
	s_and_saveexec_b64 s[4:5], vcc
	s_xor_b64 s[4:5], exec, s[4:5]
; %bb.160:
	v_mov_b32_e32 v1, 1.0
	ds_write_b32 v24, v1 offset:4928
; %bb.161:
	s_andn2_saveexec_b64 s[4:5], s[4:5]
	s_cbranch_execz .LBB23_167
; %bb.162:
	v_add_u32_e32 v18, s42, v49
	v_ashrrev_i32_e32 v19, 31, v18
	v_lshl_add_u64 v[18:19], v[18:19], 1, s[44:45]
	global_load_ushort v1, v[18:19], off
	s_movk_i32 s6, 0x1f8
	s_waitcnt vmcnt(0)
	v_lshlrev_b32_e32 v1, 16, v1
	v_cmp_class_f32_e64 s[6:7], v1, s6
	s_and_saveexec_b64 s[8:9], s[6:7]
	s_xor_b64 s[6:7], exec, s[8:9]
	s_cbranch_execz .LBB23_164
; %bb.163:
	v_add_u32_e32 v20, 0x1000, v24
	ds_read2_b32 v[18:19], v20 offset0:144 offset1:160
	v_max_f32_e32 v21, v1, v1
	s_mov_b32 s8, 0xff800000
	s_waitcnt lgkmcnt(0)
	v_max_f32_e32 v23, v19, v19
	v_max_f32_e32 v21, v23, v21
	v_sub_f32_e32 v23, v19, v21
	v_sub_f32_e32 v1, v1, v21
	v_mul_f32_e32 v23, 0x3fb8aa3b, v23
	v_exp_f32_e32 v23, v23
	v_mul_f32_e32 v1, 0x3fb8aa3b, v1
	v_exp_f32_e32 v1, v1
	v_cmp_neq_f32_e32 vcc, s8, v19
	s_nop 1
	v_cndmask_b32_e32 v19, 0, v23, vcc
	v_mul_f32_e32 v23, v18, v19
	v_fmac_f32_e32 v1, v18, v19
	v_div_scale_f32 v18, s[8:9], v1, v1, v23
	v_rcp_f32_e32 v19, v18
	v_div_scale_f32 v26, vcc, v23, v1, v23
	v_fma_f32 v27, -v18, v19, 1.0
	v_fmac_f32_e32 v19, v27, v19
	v_mul_f32_e32 v27, v26, v19
	v_fma_f32 v28, -v18, v27, v26
	v_fmac_f32_e32 v27, v28, v19
	v_fma_f32 v18, -v18, v27, v26
	v_div_fmas_f32 v18, v18, v19, v27
	v_div_fixup_f32 v18, v18, v1, v23
	v_cmp_lt_f32_e32 vcc, 0, v1
	s_nop 1
	v_cndmask_b32_e32 v18, 1.0, v18, vcc
	ds_write_b32 v24, v18 offset:4928
	ds_write2_b32 v20, v1, v21 offset0:144 offset1:160
.LBB23_164:
	s_andn2_saveexec_b64 s[6:7], s[6:7]
; %bb.165:
	v_mov_b32_e32 v1, 1.0
	ds_write_b32 v24, v1 offset:4928
; %bb.166:
	s_or_b64 exec, exec, s[6:7]
.LBB23_167:
	s_or_b64 exec, exec, s[4:5]
	v_or_b32_e32 v1, 1, v22
	v_cmp_le_u32_e32 vcc, s33, v1
	s_and_saveexec_b64 s[4:5], vcc
	s_xor_b64 s[4:5], exec, s[4:5]
	s_cbranch_execz .LBB23_171
; %bb.168:
	v_cmp_gt_u32_e32 vcc, 64, v0
	s_and_saveexec_b64 s[6:7], vcc
; %bb.169:
	v_lshlrev_b32_e32 v1, 2, v22
	v_mov_b32_e32 v18, 1.0
	ds_write_b32 v1, v18 offset:4932
; %bb.170:
	s_or_b64 exec, exec, s[6:7]
.LBB23_171:
	s_andn2_saveexec_b64 s[4:5], s[4:5]
	s_cbranch_execz .LBB23_177
; %bb.172:
	s_ashr_i32 s43, s42, 31
	v_mov_b32_e32 v23, 0
	v_lshl_add_u64 v[18:19], v[22:23], 0, s[42:43]
	v_lshl_add_u64 v[18:19], v[18:19], 1, s[44:45]
	global_load_ushort v1, v[18:19], off offset:2
	s_movk_i32 s6, 0x1f8
	s_waitcnt vmcnt(0)
	v_lshlrev_b32_e32 v1, 16, v1
	v_cmp_class_f32_e64 s[6:7], v1, s6
	s_and_saveexec_b64 s[8:9], s[6:7]
	s_xor_b64 s[6:7], exec, s[8:9]
	s_cbranch_execz .LBB23_174
; %bb.173:
	v_lshlrev_b32_e32 v20, 2, v22
	v_add_u32_e32 v21, 0x1000, v20
	ds_read2_b32 v[18:19], v21 offset0:145 offset1:161
	v_max_f32_e32 v23, v1, v1
	s_mov_b32 s8, 0xff800000
	s_waitcnt lgkmcnt(0)
	v_max_f32_e32 v26, v19, v19
	v_max_f32_e32 v23, v26, v23
	v_sub_f32_e32 v26, v19, v23
	v_sub_f32_e32 v1, v1, v23
	v_mul_f32_e32 v26, 0x3fb8aa3b, v26
	v_exp_f32_e32 v26, v26
	v_mul_f32_e32 v1, 0x3fb8aa3b, v1
	v_exp_f32_e32 v1, v1
	v_cmp_neq_f32_e32 vcc, s8, v19
	s_nop 1
	v_cndmask_b32_e32 v19, 0, v26, vcc
	v_mul_f32_e32 v26, v18, v19
	v_fmac_f32_e32 v1, v18, v19
	v_div_scale_f32 v18, s[8:9], v1, v1, v26
	v_rcp_f32_e32 v19, v18
	v_div_scale_f32 v27, vcc, v26, v1, v26
	v_fma_f32 v28, -v18, v19, 1.0
	v_fmac_f32_e32 v19, v28, v19
	v_mul_f32_e32 v28, v27, v19
	v_fma_f32 v29, -v18, v28, v27
	v_fmac_f32_e32 v28, v29, v19
	v_fma_f32 v18, -v18, v28, v27
	v_div_fmas_f32 v18, v18, v19, v28
	v_div_fixup_f32 v18, v18, v1, v26
	v_cmp_lt_f32_e32 vcc, 0, v1
	s_nop 1
	v_cndmask_b32_e32 v18, 1.0, v18, vcc
	ds_write_b32 v20, v18 offset:4932
	ds_write2_b32 v21, v1, v23 offset0:145 offset1:161
.LBB23_174:
	s_andn2_saveexec_b64 s[6:7], s[6:7]
; %bb.175:
	v_lshlrev_b32_e32 v1, 2, v22
	v_mov_b32_e32 v18, 1.0
	ds_write_b32 v1, v18 offset:4932
; %bb.176:
	s_or_b64 exec, exec, s[6:7]
.LBB23_177:
	s_or_b64 exec, exec, s[4:5]
	v_or_b32_e32 v1, 2, v22
	v_cmp_le_u32_e32 vcc, s33, v1
	s_and_saveexec_b64 s[4:5], vcc
	s_xor_b64 s[4:5], exec, s[4:5]
	s_cbranch_execz .LBB23_181
; %bb.178:
	v_cmp_gt_u32_e32 vcc, 64, v0
	s_and_saveexec_b64 s[6:7], vcc
; %bb.179:
	v_lshlrev_b32_e32 v1, 2, v22
	v_mov_b32_e32 v18, 1.0
	ds_write_b32 v1, v18 offset:4936
; %bb.180:
	s_or_b64 exec, exec, s[6:7]
.LBB23_181:
	s_andn2_saveexec_b64 s[4:5], s[4:5]
	s_cbranch_execz .LBB23_187
; %bb.182:
	s_ashr_i32 s43, s42, 31
	v_mov_b32_e32 v23, 0
	v_lshl_add_u64 v[18:19], v[22:23], 0, s[42:43]
	v_lshl_add_u64 v[18:19], v[18:19], 1, s[44:45]
	global_load_ushort v1, v[18:19], off offset:4
	s_movk_i32 s6, 0x1f8
	s_waitcnt vmcnt(0)
	v_lshlrev_b32_e32 v1, 16, v1
	v_cmp_class_f32_e64 s[6:7], v1, s6
	s_and_saveexec_b64 s[8:9], s[6:7]
	s_xor_b64 s[6:7], exec, s[8:9]
	s_cbranch_execz .LBB23_184
; %bb.183:
	v_lshlrev_b32_e32 v20, 2, v22
	v_add_u32_e32 v21, 0x1000, v20
	ds_read2_b32 v[18:19], v21 offset0:146 offset1:162
	v_max_f32_e32 v23, v1, v1
	s_mov_b32 s8, 0xff800000
	s_waitcnt lgkmcnt(0)
	v_max_f32_e32 v26, v19, v19
	v_max_f32_e32 v23, v26, v23
	v_sub_f32_e32 v26, v19, v23
	v_sub_f32_e32 v1, v1, v23
	v_mul_f32_e32 v26, 0x3fb8aa3b, v26
	v_exp_f32_e32 v26, v26
	v_mul_f32_e32 v1, 0x3fb8aa3b, v1
	v_exp_f32_e32 v1, v1
	v_cmp_neq_f32_e32 vcc, s8, v19
	s_nop 1
	v_cndmask_b32_e32 v19, 0, v26, vcc
	v_mul_f32_e32 v26, v18, v19
	v_fmac_f32_e32 v1, v18, v19
	v_div_scale_f32 v18, s[8:9], v1, v1, v26
	v_rcp_f32_e32 v19, v18
	v_div_scale_f32 v27, vcc, v26, v1, v26
	v_fma_f32 v28, -v18, v19, 1.0
	v_fmac_f32_e32 v19, v28, v19
	v_mul_f32_e32 v28, v27, v19
	v_fma_f32 v29, -v18, v28, v27
	v_fmac_f32_e32 v28, v29, v19
	v_fma_f32 v18, -v18, v28, v27
	v_div_fmas_f32 v18, v18, v19, v28
	v_div_fixup_f32 v18, v18, v1, v26
	v_cmp_lt_f32_e32 vcc, 0, v1
	s_nop 1
	v_cndmask_b32_e32 v18, 1.0, v18, vcc
	ds_write_b32 v20, v18 offset:4936
	ds_write2_b32 v21, v1, v23 offset0:146 offset1:162
.LBB23_184:
	s_andn2_saveexec_b64 s[6:7], s[6:7]
; %bb.185:
	v_lshlrev_b32_e32 v1, 2, v22
	v_mov_b32_e32 v18, 1.0
	ds_write_b32 v1, v18 offset:4936
; %bb.186:
	s_or_b64 exec, exec, s[6:7]
.LBB23_187:
	s_or_b64 exec, exec, s[4:5]
	v_cmp_le_u32_e32 vcc, s33, v25
	s_and_saveexec_b64 s[4:5], vcc
	s_xor_b64 s[4:5], exec, s[4:5]
	s_cbranch_execz .LBB23_191
; %bb.188:
	v_cmp_gt_u32_e32 vcc, 64, v0
	s_and_saveexec_b64 s[6:7], vcc
; %bb.189:
	v_lshlrev_b32_e32 v1, 2, v22
	v_mov_b32_e32 v18, 1.0
	ds_write_b32 v1, v18 offset:4940
; %bb.190:
	s_or_b64 exec, exec, s[6:7]
.LBB23_191:
	s_andn2_saveexec_b64 s[4:5], s[4:5]
	s_cbranch_execz .LBB23_196
; %bb.192:
	s_ashr_i32 s43, s42, 31
	v_mov_b32_e32 v23, 0
	v_lshl_add_u64 v[18:19], v[22:23], 0, s[42:43]
	v_lshl_add_u64 v[18:19], v[18:19], 1, s[44:45]
	global_load_ushort v1, v[18:19], off offset:6
	s_movk_i32 s4, 0x1f8
	s_waitcnt vmcnt(0)
	v_lshlrev_b32_e32 v18, 16, v1
	v_cmp_class_f32_e64 s[4:5], v18, s4
	v_lshlrev_b32_e32 v1, 2, v22
	s_and_saveexec_b64 s[6:7], s[4:5]
	s_xor_b64 s[4:5], exec, s[6:7]
	s_cbranch_execz .LBB23_194
; %bb.193:
	v_add_u32_e32 v19, 0x1000, v1
	ds_read2_b32 v[20:21], v19 offset0:147 offset1:163
	v_max_f32_e32 v23, v18, v18
	s_mov_b32 s6, 0xff800000
	s_waitcnt lgkmcnt(0)
	v_max_f32_e32 v26, v21, v21
	v_max_f32_e32 v23, v26, v23
	v_sub_f32_e32 v26, v21, v23
	v_sub_f32_e32 v18, v18, v23
	v_mul_f32_e32 v26, 0x3fb8aa3b, v26
	v_exp_f32_e32 v26, v26
	v_mul_f32_e32 v18, 0x3fb8aa3b, v18
	v_exp_f32_e32 v18, v18
	v_cmp_neq_f32_e32 vcc, s6, v21
	s_nop 1
	v_cndmask_b32_e32 v21, 0, v26, vcc
	v_mul_f32_e32 v26, v20, v21
	v_fmac_f32_e32 v18, v20, v21
	v_div_scale_f32 v20, s[6:7], v18, v18, v26
	v_rcp_f32_e32 v21, v20
	v_div_scale_f32 v27, vcc, v26, v18, v26
	v_fma_f32 v28, -v20, v21, 1.0
	v_fmac_f32_e32 v21, v28, v21
	v_mul_f32_e32 v28, v27, v21
	v_fma_f32 v29, -v20, v28, v27
	v_fmac_f32_e32 v28, v29, v21
	v_fma_f32 v20, -v20, v28, v27
	v_div_fmas_f32 v20, v20, v21, v28
	v_div_fixup_f32 v20, v20, v18, v26
	v_cmp_lt_f32_e32 vcc, 0, v18
	s_nop 1
	v_cndmask_b32_e32 v20, 1.0, v20, vcc
	ds_write_b32 v1, v20 offset:4940
	ds_write2_b32 v19, v18, v23 offset0:147 offset1:163
                                        ; implicit-def: $vgpr1
.LBB23_194:
	s_andn2_saveexec_b64 s[4:5], s[4:5]
; %bb.195:
	v_mov_b32_e32 v18, 1.0
	ds_write_b32 v1, v18 offset:4940
.LBB23_196:
	s_or_b64 exec, exec, s[2:3]
	s_waitcnt lgkmcnt(0)
	s_barrier
	ds_read_b96 v[18:20], v24 offset:4928
	v_cmp_gt_u32_e32 vcc, 64, v0
	v_mov_b32_e32 v1, 1.0
	s_and_saveexec_b64 s[2:3], vcc
; %bb.197:
	v_lshl_or_b32 v1, v22, 2, 12
	ds_read_b32 v1, v1 offset:4928
; %bb.198:
	s_or_b64 exec, exec, s[2:3]
	s_waitcnt lgkmcnt(0)
	v_pk_mul_f32 v[10:11], v[10:11], v[18:19]
	v_pk_mul_f32 v[14:15], v[14:15], v[18:19]
	;; [unrolled: 1-line block ×4, first 2 shown]
	v_mul_f32_e32 v16, v16, v20
	v_mul_f32_e32 v4, v4, v20
	;; [unrolled: 1-line block ×8, first 2 shown]
.LBB23_199:
	s_lshl_b64 s[0:1], s[0:1], 2
	s_add_u32 s0, s46, s0
	v_or_b32_e32 v18, 48, v0
	s_addc_u32 s1, s47, s1
	v_mov_b32_e32 v1, 0
	v_cmp_gt_u32_e32 vcc, s49, v49
	v_lshlrev_b32_e32 v0, 2, v48
	v_lshlrev_b32_e32 v18, 2, v18
	s_and_saveexec_b64 s[2:3], vcc
	s_cbranch_execnz .LBB23_205
; %bb.200:
	s_or_b64 exec, exec, s[2:3]
	v_cmp_gt_u32_e32 vcc, s33, v51
	s_and_saveexec_b64 s[2:3], vcc
	s_cbranch_execnz .LBB23_206
.LBB23_201:
	s_or_b64 exec, exec, s[2:3]
	v_cmp_gt_u32_e32 vcc, s33, v50
	s_and_saveexec_b64 s[2:3], vcc
	s_cbranch_execnz .LBB23_207
.LBB23_202:
	s_or_b64 exec, exec, s[2:3]
	v_cmp_gt_u32_e32 vcc, s33, v25
	s_and_b64 exec, exec, vcc
	s_cbranch_execz .LBB23_204
.LBB23_203:
	v_add_u32_e32 v2, s42, v25
	v_ashrrev_i32_e32 v3, 31, v2
	v_lshlrev_b64 v[2:3], 8, v[2:3]
	v_mov_b32_e32 v1, 0
	v_lshl_add_u64 v[2:3], s[0:1], 0, v[2:3]
	v_mov_b32_e32 v19, v1
	v_lshl_add_u64 v[6:7], v[2:3], 0, v[0:1]
	v_lshl_add_u64 v[0:1], v[2:3], 0, v[18:19]
	global_store_dword v[6:7], v17, off
	global_store_dword v[6:7], v5, off offset:64
	global_store_dword v[6:7], v9, off offset:128
	global_store_dword v[0:1], v13, off
.LBB23_204:
	s_endpgm
.LBB23_205:
	v_add_u32_e32 v20, s42, v49
	v_ashrrev_i32_e32 v21, 31, v20
	v_lshlrev_b64 v[20:21], 8, v[20:21]
	v_lshl_add_u64 v[20:21], s[0:1], 0, v[20:21]
	v_mov_b32_e32 v19, v1
	v_lshl_add_u64 v[22:23], v[20:21], 0, v[0:1]
	v_lshl_add_u64 v[20:21], v[20:21], 0, v[18:19]
	global_store_dword v[22:23], v14, off
	global_store_dword v[22:23], v2, off offset:64
	global_store_dword v[22:23], v6, off offset:128
	global_store_dword v[20:21], v10, off
	s_or_b64 exec, exec, s[2:3]
	v_cmp_gt_u32_e32 vcc, s33, v51
	s_and_saveexec_b64 s[2:3], vcc
	s_cbranch_execz .LBB23_201
.LBB23_206:
	v_add_u32_e32 v20, s42, v51
	v_ashrrev_i32_e32 v21, 31, v20
	v_lshlrev_b64 v[20:21], 8, v[20:21]
	v_lshl_add_u64 v[20:21], s[0:1], 0, v[20:21]
	v_mov_b32_e32 v1, 0
	v_lshl_add_u64 v[22:23], v[20:21], 0, v[0:1]
	v_mov_b32_e32 v19, v1
	global_store_dword v[22:23], v15, off
	global_store_dword v[22:23], v3, off offset:64
	global_store_dword v[22:23], v7, off offset:128
	v_lshl_add_u64 v[2:3], v[20:21], 0, v[18:19]
	global_store_dword v[2:3], v11, off
	s_or_b64 exec, exec, s[2:3]
	v_cmp_gt_u32_e32 vcc, s33, v50
	s_and_saveexec_b64 s[2:3], vcc
	s_cbranch_execz .LBB23_202
.LBB23_207:
	v_add_u32_e32 v2, s42, v50
	v_ashrrev_i32_e32 v3, 31, v2
	v_lshlrev_b64 v[2:3], 8, v[2:3]
	v_mov_b32_e32 v1, 0
	v_lshl_add_u64 v[2:3], s[0:1], 0, v[2:3]
	v_mov_b32_e32 v19, v1
	v_lshl_add_u64 v[6:7], v[2:3], 0, v[0:1]
	v_lshl_add_u64 v[2:3], v[2:3], 0, v[18:19]
	global_store_dword v[6:7], v16, off
	global_store_dword v[6:7], v4, off offset:64
	global_store_dword v[6:7], v8, off offset:128
	global_store_dword v[2:3], v12, off
	s_or_b64 exec, exec, s[2:3]
	v_cmp_gt_u32_e32 vcc, s33, v25
	s_and_b64 exec, exec, vcc
	s_cbranch_execnz .LBB23_203
	s_branch .LBB23_204
	.section	.rodata,"a",@progbits
	.p2align	6, 0x0
	.amdhsa_kernel _Z22fa2_decode_mfma_head64I14__hip_bfloat16Lb0ELi16ELi16EEvPKfPKvS4_S2_PKS0_PfiiiiiiiiPKiS9_xPKxS9_S9_i
		.amdhsa_group_segment_fixed_size 4992
		.amdhsa_private_segment_fixed_size 0
		.amdhsa_kernarg_size 132
		.amdhsa_user_sgpr_count 2
		.amdhsa_user_sgpr_dispatch_ptr 0
		.amdhsa_user_sgpr_queue_ptr 0
		.amdhsa_user_sgpr_kernarg_segment_ptr 1
		.amdhsa_user_sgpr_dispatch_id 0
		.amdhsa_user_sgpr_kernarg_preload_length 0
		.amdhsa_user_sgpr_kernarg_preload_offset 0
		.amdhsa_user_sgpr_private_segment_size 0
		.amdhsa_uses_dynamic_stack 0
		.amdhsa_enable_private_segment 0
		.amdhsa_system_sgpr_workgroup_id_x 1
		.amdhsa_system_sgpr_workgroup_id_y 1
		.amdhsa_system_sgpr_workgroup_id_z 0
		.amdhsa_system_sgpr_workgroup_info 0
		.amdhsa_system_vgpr_workitem_id 0
		.amdhsa_next_free_vgpr 94
		.amdhsa_next_free_sgpr 77
		.amdhsa_accum_offset 96
		.amdhsa_reserve_vcc 1
		.amdhsa_float_round_mode_32 0
		.amdhsa_float_round_mode_16_64 0
		.amdhsa_float_denorm_mode_32 3
		.amdhsa_float_denorm_mode_16_64 3
		.amdhsa_dx10_clamp 1
		.amdhsa_ieee_mode 1
		.amdhsa_fp16_overflow 0
		.amdhsa_tg_split 0
		.amdhsa_exception_fp_ieee_invalid_op 0
		.amdhsa_exception_fp_denorm_src 0
		.amdhsa_exception_fp_ieee_div_zero 0
		.amdhsa_exception_fp_ieee_overflow 0
		.amdhsa_exception_fp_ieee_underflow 0
		.amdhsa_exception_fp_ieee_inexact 0
		.amdhsa_exception_int_div_zero 0
	.end_amdhsa_kernel
	.section	.text._Z22fa2_decode_mfma_head64I14__hip_bfloat16Lb0ELi16ELi16EEvPKfPKvS4_S2_PKS0_PfiiiiiiiiPKiS9_xPKxS9_S9_i,"axG",@progbits,_Z22fa2_decode_mfma_head64I14__hip_bfloat16Lb0ELi16ELi16EEvPKfPKvS4_S2_PKS0_PfiiiiiiiiPKiS9_xPKxS9_S9_i,comdat
.Lfunc_end23:
	.size	_Z22fa2_decode_mfma_head64I14__hip_bfloat16Lb0ELi16ELi16EEvPKfPKvS4_S2_PKS0_PfiiiiiiiiPKiS9_xPKxS9_S9_i, .Lfunc_end23-_Z22fa2_decode_mfma_head64I14__hip_bfloat16Lb0ELi16ELi16EEvPKfPKvS4_S2_PKS0_PfiiiiiiiiPKiS9_xPKxS9_S9_i
                                        ; -- End function
	.set _Z22fa2_decode_mfma_head64I14__hip_bfloat16Lb0ELi16ELi16EEvPKfPKvS4_S2_PKS0_PfiiiiiiiiPKiS9_xPKxS9_S9_i.num_vgpr, 94
	.set _Z22fa2_decode_mfma_head64I14__hip_bfloat16Lb0ELi16ELi16EEvPKfPKvS4_S2_PKS0_PfiiiiiiiiPKiS9_xPKxS9_S9_i.num_agpr, 0
	.set _Z22fa2_decode_mfma_head64I14__hip_bfloat16Lb0ELi16ELi16EEvPKfPKvS4_S2_PKS0_PfiiiiiiiiPKiS9_xPKxS9_S9_i.numbered_sgpr, 77
	.set _Z22fa2_decode_mfma_head64I14__hip_bfloat16Lb0ELi16ELi16EEvPKfPKvS4_S2_PKS0_PfiiiiiiiiPKiS9_xPKxS9_S9_i.num_named_barrier, 0
	.set _Z22fa2_decode_mfma_head64I14__hip_bfloat16Lb0ELi16ELi16EEvPKfPKvS4_S2_PKS0_PfiiiiiiiiPKiS9_xPKxS9_S9_i.private_seg_size, 0
	.set _Z22fa2_decode_mfma_head64I14__hip_bfloat16Lb0ELi16ELi16EEvPKfPKvS4_S2_PKS0_PfiiiiiiiiPKiS9_xPKxS9_S9_i.uses_vcc, 1
	.set _Z22fa2_decode_mfma_head64I14__hip_bfloat16Lb0ELi16ELi16EEvPKfPKvS4_S2_PKS0_PfiiiiiiiiPKiS9_xPKxS9_S9_i.uses_flat_scratch, 0
	.set _Z22fa2_decode_mfma_head64I14__hip_bfloat16Lb0ELi16ELi16EEvPKfPKvS4_S2_PKS0_PfiiiiiiiiPKiS9_xPKxS9_S9_i.has_dyn_sized_stack, 0
	.set _Z22fa2_decode_mfma_head64I14__hip_bfloat16Lb0ELi16ELi16EEvPKfPKvS4_S2_PKS0_PfiiiiiiiiPKiS9_xPKxS9_S9_i.has_recursion, 0
	.set _Z22fa2_decode_mfma_head64I14__hip_bfloat16Lb0ELi16ELi16EEvPKfPKvS4_S2_PKS0_PfiiiiiiiiPKiS9_xPKxS9_S9_i.has_indirect_call, 0
	.section	.AMDGPU.csdata,"",@progbits
; Kernel info:
; codeLenInByte = 9360
; TotalNumSgprs: 83
; NumVgprs: 94
; NumAgprs: 0
; TotalNumVgprs: 94
; ScratchSize: 0
; MemoryBound: 0
; FloatMode: 240
; IeeeMode: 1
; LDSByteSize: 4992 bytes/workgroup (compile time only)
; SGPRBlocks: 10
; VGPRBlocks: 11
; NumSGPRsForWavesPerEU: 83
; NumVGPRsForWavesPerEU: 94
; AccumOffset: 96
; Occupancy: 5
; WaveLimiterHint : 1
; COMPUTE_PGM_RSRC2:SCRATCH_EN: 0
; COMPUTE_PGM_RSRC2:USER_SGPR: 2
; COMPUTE_PGM_RSRC2:TRAP_HANDLER: 0
; COMPUTE_PGM_RSRC2:TGID_X_EN: 1
; COMPUTE_PGM_RSRC2:TGID_Y_EN: 1
; COMPUTE_PGM_RSRC2:TGID_Z_EN: 0
; COMPUTE_PGM_RSRC2:TIDIG_COMP_CNT: 0
; COMPUTE_PGM_RSRC3_GFX90A:ACCUM_OFFSET: 23
; COMPUTE_PGM_RSRC3_GFX90A:TG_SPLIT: 0
	.section	.text._Z22fa2_decode_mfma_head64IfLb1ELi16ELi16EEvPKfPKvS3_S1_PK14__hip_bfloat16PfiiiiiiiiPKiS9_xPKxS9_S9_i,"axG",@progbits,_Z22fa2_decode_mfma_head64IfLb1ELi16ELi16EEvPKfPKvS3_S1_PK14__hip_bfloat16PfiiiiiiiiPKiS9_xPKxS9_S9_i,comdat
	.protected	_Z22fa2_decode_mfma_head64IfLb1ELi16ELi16EEvPKfPKvS3_S1_PK14__hip_bfloat16PfiiiiiiiiPKiS9_xPKxS9_S9_i ; -- Begin function _Z22fa2_decode_mfma_head64IfLb1ELi16ELi16EEvPKfPKvS3_S1_PK14__hip_bfloat16PfiiiiiiiiPKiS9_xPKxS9_S9_i
	.globl	_Z22fa2_decode_mfma_head64IfLb1ELi16ELi16EEvPKfPKvS3_S1_PK14__hip_bfloat16PfiiiiiiiiPKiS9_xPKxS9_S9_i
	.p2align	8
	.type	_Z22fa2_decode_mfma_head64IfLb1ELi16ELi16EEvPKfPKvS3_S1_PK14__hip_bfloat16PfiiiiiiiiPKiS9_xPKxS9_S9_i,@function
_Z22fa2_decode_mfma_head64IfLb1ELi16ELi16EEvPKfPKvS3_S1_PK14__hip_bfloat16PfiiiiiiiiPKiS9_xPKxS9_S9_i: ; @_Z22fa2_decode_mfma_head64IfLb1ELi16ELi16EEvPKfPKvS3_S1_PK14__hip_bfloat16PfiiiiiiiiPKiS9_xPKxS9_S9_i
; %bb.0:
	s_load_dwordx2 s[12:13], s[0:1], 0x30
	s_load_dwordx2 s[40:41], s[0:1], 0x3c
	v_cmp_gt_u32_e32 vcc, 64, v0
	s_waitcnt lgkmcnt(0)
	s_cmp_lt_i32 s3, s12
	s_cselect_b64 s[4:5], -1, 0
	s_and_b64 s[4:5], vcc, s[4:5]
	s_cmp_gt_i32 s41, 0
	s_cselect_b64 s[8:9], -1, 0
	s_and_b64 s[4:5], s[4:5], s[8:9]
	s_and_saveexec_b64 s[8:9], s[4:5]
	s_cbranch_execz .LBB24_228
; %bb.1:
	s_load_dwordx2 s[8:9], s[0:1], 0x48
	s_mul_i32 s34, s41, s2
	s_waitcnt lgkmcnt(0)
	s_cmp_ge_i32 s34, s9
	s_cbranch_scc1 .LBB24_228
; %bb.2:
	s_mov_b32 s6, s3
	s_load_dwordx4 s[20:23], s[0:1], 0x50
	s_load_dwordx2 s[14:15], s[0:1], 0x78
	s_load_dwordx4 s[16:19], s[0:1], 0x68
	s_load_dwordx2 s[10:11], s[0:1], 0x0
	s_ashr_i32 s7, s3, 31
	s_lshl_b64 s[24:25], s[6:7], 2
	s_waitcnt lgkmcnt(0)
	s_add_u32 s4, s20, s24
	s_addc_u32 s5, s21, s25
	s_ashr_i32 s21, s8, 31
	s_mov_b32 s20, s8
	s_lshl_b64 s[26:27], s[20:21], 2
	s_add_u32 s14, s14, s26
	s_addc_u32 s15, s15, s27
	s_lshl_b64 s[20:21], s[20:21], 3
	s_add_u32 s16, s16, s20
	s_addc_u32 s17, s17, s21
	s_add_u32 s18, s18, s26
	s_addc_u32 s19, s19, s27
	;; [unrolled: 2-line block ×3, first 2 shown]
	v_cmp_gt_u32_e64 s[30:31], 16, v0
	v_lshlrev_b32_e32 v2, 2, v0
	s_and_saveexec_b64 s[22:23], s[30:31]
; %bb.3:
	v_mov_b32_e32 v1, 0xff800000
	v_mov_b32_e32 v3, 0
	v_add_u32_e32 v4, 0x1000, v2
	ds_write2_b32 v4, v3, v1 offset0:144 offset1:160
; %bb.4:
	s_or_b64 exec, exec, s[22:23]
	s_mul_hi_i32 s43, s6, s9
	s_mul_i32 s42, s6, s9
	v_and_b32_e32 v48, 15, v0
	s_lshl_b64 s[6:7], s[42:43], 8
	v_rsq_f32_e32 v4, 0x42800000
	v_add_u32_e32 v6, s34, v48
	s_add_u32 s6, s10, s6
	v_ashrrev_i32_e32 v7, 31, v6
	v_lshrrev_b32_e32 v22, 2, v0
	s_addc_u32 s7, s11, s7
	v_lshlrev_b64 v[6:7], 8, v[6:7]
	v_and_b32_e32 v49, 12, v22
	v_cmp_gt_u32_e64 s[28:29], s41, v48
	v_lshl_add_u64 v[6:7], s[6:7], 0, v[6:7]
	v_mov_b32_e32 v26, 0
	v_lshlrev_b32_e32 v24, 2, v49
	v_mov_b32_e32 v28, 0
	v_mov_b32_e32 v29, 0
	s_waitcnt lgkmcnt(0)
	s_barrier
	s_and_saveexec_b64 s[6:7], s[28:29]
	s_cbranch_execz .LBB24_6
; %bb.5:
	v_mov_b32_e32 v25, 0
	v_lshl_add_u64 v[8:9], v[6:7], 0, v[24:25]
	v_lshl_or_b32 v12, v22, 2, 12
	v_mov_b32_e32 v13, v25
	global_load_dwordx3 v[8:10], v[8:9], off
	v_lshl_add_u64 v[12:13], v[6:7], 0, v[12:13]
	global_load_dword v11, v[12:13], off
	s_waitcnt vmcnt(1)
	v_pk_mul_f32 v[8:9], v[4:5], v[8:9] op_sel_hi:[0,1]
	v_cvt_pk_bf16_f32 v28, v8, v9
	s_waitcnt vmcnt(0)
	v_pk_mul_f32 v[8:9], v[4:5], v[10:11] op_sel_hi:[0,1]
	v_cvt_pk_bf16_f32 v29, v8, v9
.LBB24_6:
	s_or_b64 exec, exec, s[6:7]
	v_mov_b32_e32 v27, 0
	s_and_saveexec_b64 s[6:7], s[28:29]
	s_cbranch_execz .LBB24_8
; %bb.7:
	v_mov_b32_e32 v25, 0
	v_mov_b32_e32 v1, 0x4c
	v_lshl_add_u64 v[8:9], v[6:7], 0, v[24:25]
	v_lshl_or_b32 v12, v22, 2, v1
	v_mov_b32_e32 v13, v25
	global_load_dwordx3 v[8:10], v[8:9], off offset:64
	v_lshl_add_u64 v[12:13], v[6:7], 0, v[12:13]
	global_load_dword v11, v[12:13], off
	s_waitcnt vmcnt(1)
	v_pk_mul_f32 v[8:9], v[4:5], v[8:9] op_sel_hi:[0,1]
	v_cvt_pk_bf16_f32 v26, v8, v9
	s_waitcnt vmcnt(0)
	v_pk_mul_f32 v[8:9], v[4:5], v[10:11] op_sel_hi:[0,1]
	v_cvt_pk_bf16_f32 v27, v8, v9
.LBB24_8:
	s_or_b64 exec, exec, s[6:7]
	v_mov_b32_e32 v30, 0
	v_mov_b32_e32 v32, 0
	;; [unrolled: 1-line block ×3, first 2 shown]
	s_and_saveexec_b64 s[6:7], s[28:29]
	s_cbranch_execz .LBB24_10
; %bb.9:
	v_mov_b32_e32 v25, 0
	v_mov_b32_e32 v1, 0x8c
	v_lshl_add_u64 v[8:9], v[6:7], 0, v[24:25]
	v_lshl_or_b32 v12, v22, 2, v1
	v_mov_b32_e32 v13, v25
	global_load_dwordx3 v[8:10], v[8:9], off offset:128
	v_lshl_add_u64 v[12:13], v[6:7], 0, v[12:13]
	global_load_dword v11, v[12:13], off
	s_waitcnt vmcnt(1)
	v_pk_mul_f32 v[8:9], v[4:5], v[8:9] op_sel_hi:[0,1]
	v_cvt_pk_bf16_f32 v32, v8, v9
	s_waitcnt vmcnt(0)
	v_pk_mul_f32 v[8:9], v[4:5], v[10:11] op_sel_hi:[0,1]
	v_cvt_pk_bf16_f32 v33, v8, v9
.LBB24_10:
	s_or_b64 exec, exec, s[6:7]
	s_load_dword s35, s[4:5], 0x0
	v_mov_b32_e32 v31, 0
	s_and_saveexec_b64 s[4:5], s[28:29]
	s_cbranch_execz .LBB24_12
; %bb.11:
	v_mov_b32_e32 v25, 0
	v_mov_b32_e32 v1, 0xcc
	v_lshl_add_u64 v[8:9], v[6:7], 0, v[24:25]
	v_lshl_or_b32 v12, v22, 2, v1
	v_mov_b32_e32 v13, v25
	global_load_dwordx3 v[8:10], v[8:9], off offset:192
	v_lshl_add_u64 v[6:7], v[6:7], 0, v[12:13]
	global_load_dword v7, v[6:7], off
	s_waitcnt vmcnt(1)
	v_mov_b32_e32 v6, v10
	v_pk_mul_f32 v[8:9], v[4:5], v[8:9] op_sel_hi:[0,1]
	s_waitcnt vmcnt(0)
	v_pk_mul_f32 v[4:5], v[4:5], v[6:7] op_sel_hi:[0,1]
	v_cvt_pk_bf16_f32 v30, v8, v9
	v_cvt_pk_bf16_f32 v31, v4, v5
.LBB24_12:
	s_or_b64 exec, exec, s[4:5]
	s_load_dwordx4 s[36:39], s[0:1], 0x20
	s_min_u32 s33, s41, 16
	s_mov_b32 s58, 0
	s_waitcnt lgkmcnt(0)
	s_cmp_gt_i32 s35, -1
	v_cmp_gt_u32_e64 s[4:5], s41, v49
	v_cmp_eq_u32_e64 s[6:7], 0, v48
	v_or_b32_e32 v51, 1, v49
	v_or_b32_e32 v50, 2, v49
	;; [unrolled: 1-line block ×3, first 2 shown]
	s_cbranch_scc0 .LBB24_177
; %bb.13:
	s_load_dwordx4 s[8:11], s[0:1], 0x8
	s_load_dwordx2 s[22:23], s[0:1], 0x18
	s_load_dword s3, s[0:1], 0x80
	s_load_dwordx2 s[24:25], s[16:17], 0x0
	s_load_dword s12, s[14:15], 0x0
	s_load_dword s59, s[18:19], 0x0
	;; [unrolled: 1-line block ×3, first 2 shown]
	s_waitcnt lgkmcnt(0)
	s_add_i32 s0, s3, -1
	s_cmp_lt_u32 s0, 16
	s_cselect_b32 s60, s3, 16
	s_add_i32 s0, s59, -1
	s_add_i32 s61, s35, 1
	s_and_b32 s0, s59, s0
	s_cmp_lg_u32 s0, 0
	s_cselect_b64 s[44:45], -1, 0
	s_ashr_i32 s3, s26, 31
	s_mul_i32 s15, s59, s40
	s_mul_hi_i32 s14, s59, s40
	s_mul_i32 s3, s15, s3
	s_mul_hi_u32 s16, s15, s26
	s_add_i32 s3, s16, s3
	s_mul_i32 s14, s14, s26
	v_mbcnt_lo_u32_b32 v3, -1, 0
	s_ashr_i32 s1, s40, 31
	s_add_i32 s3, s3, s14
	s_mul_i32 s15, s15, s26
	v_mbcnt_hi_u32_b32 v4, -1, v3
	s_add_u32 s14, s15, s24
	v_lshlrev_b32_e32 v3, 2, v4
	s_addc_u32 s15, s3, s25
	v_and_b32_e32 v23, 0x1c0, v3
	v_mov_b32_e32 v3, 0x1000
	s_lshl_b64 s[14:15], s[14:15], 2
	v_lshl_or_b32 v7, v48, 1, v3
	v_mov_b32_e32 v3, 0x800
	s_add_u32 s8, s8, s14
	v_lshl_or_b32 v3, v48, 5, v3
	v_lshlrev_b32_e32 v9, 1, v49
	v_lshlrev_b32_e32 v10, 1, v25
	;; [unrolled: 1-line block ×3, first 2 shown]
	s_addc_u32 s9, s9, s15
	v_or_b32_e32 v52, v3, v9
	v_add_u32_e32 v53, v3, v10
	v_or_b32_e32 v3, 0x600, v11
	s_add_u32 s10, s10, s14
	v_add_u32_e32 v3, 0x800, v3
	v_mov_b32_e32 v34, 0
	s_addc_u32 s11, s11, s15
	v_or_b32_e32 v54, v3, v9
	v_add_u32_e32 v55, v3, v10
	v_mov_b32_e32 v3, v34
	s_mov_b32 s0, s40
	s_ashr_i32 s3, s2, 31
	v_lshl_add_u64 v[36:37], s[8:9], 0, v[2:3]
	v_lshl_add_u64 v[38:39], s[10:11], 0, v[2:3]
	v_lshlrev_b32_e32 v2, 1, v22
	s_lshl_b64 s[46:47], s[2:3], 8
	s_lshl_b64 s[48:49], s[0:1], 2
	v_lshlrev_b32_e32 v1, 7, v48
	v_or_b32_e32 v3, 38, v2
	s_cmp_lg_u32 s12, 0
	v_bitop3_b32 v6, v4, 15, v4 bitop3:0xc
	v_add_u32_e32 v59, v1, v3
	v_or_b32_e32 v3, 0x46, v2
	v_or_b32_e32 v2, 0x66, v2
	s_cselect_b64 s[50:51], -1, 0
	s_ashr_i32 s0, s13, 31
	v_or_b32_e32 v57, v1, v9
	v_add_u32_e32 v58, v1, v10
	v_add_u32_e32 v60, v1, v3
	;; [unrolled: 1-line block ×3, first 2 shown]
	v_bitop3_b32 v1, v4, 8, 15 bitop3:8
	v_cmp_gt_u32_e32 vcc, 4, v6
	s_mul_hi_u32 s1, s35, s13
	s_mul_i32 s0, s35, s0
	v_and_b32_e32 v5, 15, v4
	v_add_lshl_u32 v62, v1, v4, 2
	v_cndmask_b32_e64 v1, 4, 0, vcc
	v_cmp_gt_u32_e32 vcc, 2, v6
	s_add_i32 s1, s1, s0
	s_mul_i32 s0, s35, s13
	v_add_lshl_u32 v63, v1, v4, 2
	v_cndmask_b32_e64 v1, 2, 0, vcc
	v_cmp_ne_u32_e32 vcc, 15, v5
	s_add_i32 s40, s59, 0x7fffffff
	s_lshl_b64 s[0:1], s[0:1], 2
	v_add_lshl_u32 v64, v1, v4, 2
	v_addc_co_u32_e32 v1, vcc, 0, v4, vcc
	s_add_u32 s52, s22, s0
	v_lshlrev_b32_e32 v65, 2, v1
	v_lshlrev_b32_e32 v1, 2, v22
	s_addc_u32 s53, s23, s1
	v_add_u32_e32 v66, 0x1200, v1
	v_add_u32_e32 v67, 0x1280, v1
	v_lshlrev_b32_e32 v1, 2, v25
	s_abs_i32 s62, s59
	v_add_u32_e32 v68, 0x1280, v1
	v_add_u32_e32 v69, 0x1300, v1
	;; [unrolled: 1-line block ×5, first 2 shown]
	v_cvt_f32_u32_e32 v1, s62
	s_movk_i32 s0, 0x100
	v_cmp_gt_u32_e64 s[8:9], s0, v0
	s_sub_i32 s0, 0, s62
	v_rcp_iflag_f32_e32 v1, v1
	v_mad_u32_u24 v8, v48, 30, v7
	v_mov_b32_e32 v78, 0x12c0
	v_add_u32_e32 v56, 0x800, v11
	v_mul_f32_e32 v1, 0x4f7ffffe, v1
	v_cvt_u32_f32_e32 v2, v1
	v_cmp_le_u32_e64 s[10:11], s41, v49
	v_cmp_gt_u32_e64 s[12:13], s33, v51
	v_cmp_le_u32_e64 s[14:15], s33, v51
	v_mul_lo_u32 v3, s0, v2
	v_mul_hi_u32 v3, v2, v3
	v_cmp_gt_u32_e64 s[16:17], s33, v50
	v_cmp_le_u32_e64 s[18:19], s33, v50
	v_cmp_gt_u32_e64 s[20:21], s33, v25
	v_cmp_le_u32_e64 s[22:23], s33, v25
	v_cmp_gt_u32_e64 s[24:25], 64, v0
	v_lshl_or_b32 v73, v49, 5, v7
	v_lshl_add_u32 v74, v25, 5, v7
	v_add_u32_e32 v75, v8, v9
	v_add_u32_e32 v76, v8, v10
	s_mov_b32 s63, s48
	s_mov_b32 s64, s49
	;; [unrolled: 1-line block ×4, first 2 shown]
	v_or_b32_e32 v1, 64, v0
	v_add_u32_e32 v77, v2, v3
	s_mov_b32 s65, 0x5040100
	s_mov_b32 s66, 0xff800000
	;; [unrolled: 1-line block ×5, first 2 shown]
	v_mov_b32_e32 v14, 0
	v_mov_b32_e32 v15, v34
	;; [unrolled: 1-line block ×16, first 2 shown]
	v_lshl_or_b32 v79, v48, 2, v78
	v_lshlrev_b32_e32 v80, 1, v0
	v_or_b32_e32 v81, 0x1200, v24
	v_or_b32_e32 v82, 0x1280, v24
	;; [unrolled: 1-line block ×5, first 2 shown]
	s_branch .LBB24_15
.LBB24_14:                              ;   in Loop: Header=BB24_15 Depth=1
	s_or_b64 exec, exec, s[0:1]
	v_mul_f32_e32 v14, v14, v47
	v_mul_f32_e32 v2, v2, v47
	;; [unrolled: 1-line block ×16, first 2 shown]
	v_mfma_f32_16x16x16_bf16 v[14:17], v[18:19], v[20:21], v[14:17]
	s_add_i32 s69, s69, s60
	s_add_i32 s58, s58, 1
	s_sub_i32 s68, s68, s60
	v_mfma_f32_16x16x16_bf16 v[2:5], v[18:19], v[40:41], v[2:5]
	s_cmp_gt_i32 s69, s35
	s_barrier
	v_mfma_f32_16x16x16_bf16 v[6:9], v[18:19], v[42:43], v[6:9]
	v_mfma_f32_16x16x16_bf16 v[10:13], v[18:19], v[44:45], v[10:13]
	s_cbranch_scc1 .LBB24_178
.LBB24_15:                              ; =>This Loop Header: Depth=1
                                        ;     Child Loop BB24_30 Depth 2
                                        ;     Child Loop BB24_36 Depth 2
	s_sub_i32 s0, s61, s69
	s_min_i32 s70, s0, s60
	v_cmp_le_u32_e64 s[2:3], s70, v48
	v_cmp_gt_u32_e64 s[26:27], s70, v48
	v_add_u32_e32 v40, s69, v48
	s_mov_b64 s[56:57], 0
                                        ; implicit-def: $vgpr18
	s_and_saveexec_b64 s[0:1], s[26:27]
	s_xor_b64 s[0:1], exec, s[0:1]
	s_cbranch_execz .LBB24_57
; %bb.16:                               ;   in Loop: Header=BB24_15 Depth=1
	s_andn2_b64 vcc, exec, s[50:51]
	v_mov_b32_e32 v18, v40
	s_cbranch_vccnz .LBB24_23
; %bb.17:                               ;   in Loop: Header=BB24_15 Depth=1
	s_mov_b64 s[56:57], -1
	s_and_b64 vcc, exec, s[44:45]
                                        ; implicit-def: $vgpr18
	s_cbranch_vccz .LBB24_21
; %bb.18:                               ;   in Loop: Header=BB24_15 Depth=1
	v_cmp_le_i32_e32 vcc, s59, v40
	v_mov_b32_e32 v18, v40
	s_and_saveexec_b64 s[56:57], vcc
; %bb.19:                               ;   in Loop: Header=BB24_15 Depth=1
	v_mul_hi_u32 v18, v40, v77
	v_mul_lo_u32 v18, v18, s62
	v_sub_u32_e32 v18, v40, v18
	v_subrev_u32_e32 v19, s62, v18
	v_cmp_le_u32_e32 vcc, s62, v18
	s_nop 1
	v_cndmask_b32_e32 v18, v18, v19, vcc
	v_subrev_u32_e32 v19, s62, v18
	v_cmp_le_u32_e32 vcc, s62, v18
	s_nop 1
	v_cndmask_b32_e32 v18, v18, v19, vcc
; %bb.20:                               ;   in Loop: Header=BB24_15 Depth=1
	s_or_b64 exec, exec, s[56:57]
	s_mov_b64 s[56:57], 0
.LBB24_21:                              ;   in Loop: Header=BB24_15 Depth=1
	s_andn2_b64 vcc, exec, s[56:57]
	s_cbranch_vccnz .LBB24_23
; %bb.22:                               ;   in Loop: Header=BB24_15 Depth=1
	v_and_b32_e32 v18, s40, v40
.LBB24_23:                              ;   in Loop: Header=BB24_15 Depth=1
	s_and_b64 s[56:57], s[30:31], exec
	s_andn2_saveexec_b64 s[0:1], s[0:1]
	s_cbranch_execnz .LBB24_58
.LBB24_24:                              ;   in Loop: Header=BB24_15 Depth=1
	s_or_b64 exec, exec, s[0:1]
	s_and_saveexec_b64 s[0:1], s[56:57]
.LBB24_25:                              ;   in Loop: Header=BB24_15 Depth=1
	ds_write_b32 v79, v18
.LBB24_26:                              ;   in Loop: Header=BB24_15 Depth=1
	s_or_b64 exec, exec, s[0:1]
	s_min_u32 s71, s70, 16
	s_lshl_b32 s72, s71, 6
	v_cmp_gt_u32_e32 vcc, s72, v0
	s_waitcnt lgkmcnt(0)
	s_barrier
	s_and_saveexec_b64 s[0:1], vcc
	s_cbranch_execz .LBB24_37
; %bb.27:                               ;   in Loop: Header=BB24_15 Depth=1
	s_mul_i32 s56, s60, s58
	s_sub_i32 s56, s61, s56
	s_min_i32 s73, s60, s56
	s_mov_b64 s[56:57], -1
	s_cmp_eq_u32 s73, 1
	v_mov_b32_e32 v18, v0
	s_cbranch_scc1 .LBB24_34
; %bb.28:                               ;   in Loop: Header=BB24_15 Depth=1
	s_min_u32 s56, s73, 16
	s_add_i32 s56, s56, -1
	s_and_b32 s56, s56, 0x3ffffff
	s_add_i32 s57, s56, -1
	s_cmp_lt_u32 s57, 2
	v_mov_b64_e32 v[18:19], v[0:1]
	s_cbranch_scc1 .LBB24_31
; %bb.29:                               ;   in Loop: Header=BB24_15 Depth=1
	s_min_i32 s73, s60, s68
	s_min_u32 s73, s73, 16
	s_add_i32 s73, s73, -1
	s_and_b32 s73, s73, 0x3ffffff
	s_add_i32 s73, s73, -1
	s_lshr_b32 s73, s73, 1
	s_add_i32 s73, s73, 1
	s_and_b32 s73, s73, -2
	v_mov_b64_e32 v[18:19], v[0:1]
.LBB24_30:                              ;   Parent Loop BB24_15 Depth=1
                                        ; =>  This Inner Loop Header: Depth=2
	v_lshrrev_b32_e32 v35, 6, v18
	v_add_u32_e32 v41, 0x80, v18
	v_lshl_add_u32 v44, v35, 2, v78
	v_lshrrev_b32_e32 v41, 6, v41
	ds_read2_b32 v[44:45], v44 offset1:1
	v_lshl_add_u32 v46, v41, 2, v78
	ds_read2_b32 v[46:47], v46 offset1:1
	v_mov_b64_e32 v[20:21], s[54:55]
	v_mov_b64_e32 v[42:43], s[46:47]
	s_waitcnt lgkmcnt(1)
	v_ashrrev_i32_e32 v90, 31, v44
	v_ashrrev_i32_e32 v91, 31, v45
	v_mad_u64_u32 v[86:87], s[74:75], s63, v45, v[20:21]
	v_mul_lo_u32 v45, s64, v45
	v_mad_u64_u32 v[88:89], s[74:75], s48, v44, v[42:43]
	v_mul_lo_u32 v44, s49, v44
	v_mul_lo_u32 v91, s63, v91
	;; [unrolled: 1-line block ×3, first 2 shown]
	s_waitcnt lgkmcnt(0)
	v_ashrrev_i32_e32 v92, 31, v46
	v_ashrrev_i32_e32 v93, 31, v47
	v_mad_u64_u32 v[20:21], s[74:75], s63, v47, v[20:21]
	v_mul_lo_u32 v94, s64, v47
	v_mad_u64_u32 v[42:43], s[74:75], s48, v46, v[42:43]
	v_mul_lo_u32 v95, s49, v46
	v_add3_u32 v87, v45, v87, v91
	v_add3_u32 v89, v44, v89, v90
	v_mul_lo_u32 v90, s63, v93
	v_mul_lo_u32 v91, s48, v92
	v_lshl_add_u64 v[44:45], v[36:37], 0, v[88:89]
	v_lshl_add_u64 v[46:47], v[36:37], 0, v[86:87]
	;; [unrolled: 1-line block ×4, first 2 shown]
	v_add3_u32 v21, v94, v21, v90
	v_add3_u32 v43, v95, v43, v91
	global_load_dword v90, v[44:45], off
	global_load_dword v91, v[46:47], off
	s_nop 0
	global_load_dword v88, v[88:89], off
	s_nop 0
	global_load_dword v86, v[86:87], off
	v_lshl_add_u64 v[44:45], v[36:37], 0, v[42:43]
	v_lshl_add_u64 v[46:47], v[36:37], 0, v[20:21]
	;; [unrolled: 1-line block ×4, first 2 shown]
	global_load_dword v44, v[44:45], off
	s_nop 0
	global_load_dword v45, v[46:47], off
	s_nop 0
	;; [unrolled: 2-line block ×3, first 2 shown]
	global_load_dword v20, v[20:21], off
	v_lshlrev_b32_e32 v21, 1, v19
	s_add_i32 s73, s73, -2
	v_lshl_add_u32 v43, v35, 7, v80
	v_and_b32_e32 v46, 0xffffff80, v21
	v_lshl_add_u32 v35, v35, 1, v56
	v_add_u32_e32 v21, 0x100, v21
	v_add_u32_e32 v19, 0x100, v19
	;; [unrolled: 1-line block ×3, first 2 shown]
	s_cmp_lg_u32 s73, 0
	v_add_u32_e32 v46, v80, v46
	v_lshl_add_u32 v47, v41, 7, v80
	v_and_b32_e32 v21, 0xffffff80, v21
	v_lshl_add_u32 v41, v41, 1, v56
	v_add_u32_e32 v21, v80, v21
	s_waitcnt vmcnt(6)
	v_cvt_pk_bf16_f32 v87, v90, v91
	s_waitcnt vmcnt(4)
	v_cvt_pk_bf16_f32 v86, v88, v86
	ds_write_b16 v43, v87
	ds_write_b16_d16_hi v46, v87
	ds_write_b32 v35, v86
	s_waitcnt vmcnt(2)
	v_cvt_pk_bf16_f32 v35, v44, v45
	s_waitcnt vmcnt(0)
	v_cvt_pk_bf16_f32 v20, v42, v20
	ds_write_b16 v47, v35
	ds_write_b16_d16_hi v21, v35
	ds_write_b32 v41, v20
	s_cbranch_scc1 .LBB24_30
.LBB24_31:                              ;   in Loop: Header=BB24_15 Depth=1
	s_bitcmp1_b32 s57, 1
	s_cbranch_scc1 .LBB24_33
; %bb.32:                               ;   in Loop: Header=BB24_15 Depth=1
	v_lshrrev_b32_e32 v18, 6, v18
	v_lshl_add_u32 v20, v18, 2, v78
	ds_read2_b32 v[20:21], v20 offset1:1
	v_mov_b32_e32 v42, s54
	v_mov_b32_e32 v43, s55
	;; [unrolled: 1-line block ×4, first 2 shown]
	s_waitcnt lgkmcnt(0)
	v_ashrrev_i32_e32 v41, 31, v21
	v_ashrrev_i32_e32 v35, 31, v20
	v_mul_lo_u32 v41, s63, v41
	v_mad_u64_u32 v[42:43], s[74:75], s63, v21, v[42:43]
	v_mul_lo_u32 v21, s64, v21
	v_add3_u32 v43, v21, v43, v41
	v_mul_lo_u32 v21, s48, v35
	v_mad_u64_u32 v[44:45], s[74:75], s48, v20, v[44:45]
	v_mul_lo_u32 v20, s49, v20
	v_add3_u32 v45, v20, v45, v21
	v_lshl_add_u64 v[20:21], v[36:37], 0, v[44:45]
	v_lshl_add_u64 v[46:47], v[36:37], 0, v[42:43]
	global_load_dword v35, v[20:21], off
	global_load_dword v41, v[46:47], off
	v_lshl_add_u64 v[20:21], v[38:39], 0, v[44:45]
	v_lshl_add_u64 v[42:43], v[38:39], 0, v[42:43]
	global_load_dword v20, v[20:21], off
	s_nop 0
	global_load_dword v21, v[42:43], off
	v_lshlrev_b32_e32 v19, 1, v19
	v_lshl_add_u32 v42, v18, 7, v80
	v_and_b32_e32 v19, 0xffffff80, v19
	v_lshl_add_u32 v18, v18, 1, v56
	v_add_u32_e32 v19, v80, v19
	s_waitcnt vmcnt(2)
	v_cvt_pk_bf16_f32 v35, v35, v41
	s_waitcnt vmcnt(0)
	v_cvt_pk_bf16_f32 v20, v20, v21
	ds_write_b16 v42, v35
	ds_write_b16_d16_hi v19, v35
	ds_write_b32 v18, v20
.LBB24_33:                              ;   in Loop: Header=BB24_15 Depth=1
	s_add_i32 s56, s56, 1
	s_and_b32 s57, s56, 0x7fffffe
	s_cmp_lg_u32 s56, s57
	v_lshl_or_b32 v18, s57, 6, v0
	s_cselect_b64 s[56:57], -1, 0
.LBB24_34:                              ;   in Loop: Header=BB24_15 Depth=1
	s_and_b64 vcc, exec, s[56:57]
	s_cbranch_vccz .LBB24_37
; %bb.35:                               ;   in Loop: Header=BB24_15 Depth=1
	v_lshrrev_b32_e32 v21, 6, v18
	v_lshl_add_u32 v19, v21, 7, v80
	v_lshl_add_u32 v20, v21, 1, v56
	;; [unrolled: 1-line block ×3, first 2 shown]
	s_mov_b64 s[56:57], 0
.LBB24_36:                              ;   Parent Loop BB24_15 Depth=1
                                        ; =>  This Inner Loop Header: Depth=2
	ds_read_b32 v35, v21
	v_mov_b64_e32 v[42:43], s[46:47]
	v_add_u32_e32 v18, 64, v18
	v_cmp_le_u32_e32 vcc, s72, v18
	v_add_u32_e32 v21, 4, v21
	s_waitcnt lgkmcnt(0)
	v_ashrrev_i32_e32 v41, 31, v35
	v_mad_u64_u32 v[42:43], s[74:75], s48, v35, v[42:43]
	v_mul_lo_u32 v35, s49, v35
	v_mul_lo_u32 v41, s48, v41
	v_add3_u32 v43, v35, v43, v41
	v_lshl_add_u64 v[44:45], v[36:37], 0, v[42:43]
	v_lshl_add_u64 v[42:43], v[38:39], 0, v[42:43]
	global_load_dword v35, v[44:45], off
	global_load_dword v41, v[42:43], off
	s_or_b64 s[56:57], vcc, s[56:57]
	s_waitcnt vmcnt(1)
	v_cvt_pk_bf16_f32 v35, v35, s0
	s_waitcnt vmcnt(0)
	v_cvt_pk_bf16_f32 v41, v41, s0
	ds_write_b16 v19, v35
	ds_write_b16 v20, v41
	v_add_u32_e32 v19, 0x80, v19
	v_add_u32_e32 v20, 2, v20
	s_andn2_b64 exec, exec, s[56:57]
	s_cbranch_execnz .LBB24_36
.LBB24_37:                              ;   in Loop: Header=BB24_15 Depth=1
	s_or_b64 exec, exec, s[0:1]
	v_mov_b32_e32 v44, 0
	v_mov_b32_e32 v18, 0
	;; [unrolled: 1-line block ×3, first 2 shown]
	s_waitcnt lgkmcnt(0)
	s_barrier
	s_and_saveexec_b64 s[0:1], s[26:27]
	s_cbranch_execz .LBB24_41
; %bb.38:                               ;   in Loop: Header=BB24_15 Depth=1
	ds_read_u16 v19, v57 offset:4
	ds_read_b32 v18, v57
	s_waitcnt lgkmcnt(1)
	v_and_b32_e32 v19, 0xffff, v19
	s_and_saveexec_b64 s[56:57], s[8:9]
	s_cbranch_execz .LBB24_40
; %bb.39:                               ;   in Loop: Header=BB24_15 Depth=1
	ds_read_u16 v20, v58
	s_waitcnt lgkmcnt(0)
	v_perm_b32 v19, v20, v19, s65
.LBB24_40:                              ;   in Loop: Header=BB24_15 Depth=1
	s_or_b64 exec, exec, s[56:57]
.LBB24_41:                              ;   in Loop: Header=BB24_15 Depth=1
	s_or_b64 exec, exec, s[0:1]
	s_waitcnt lgkmcnt(0)
	v_mfma_f32_16x16x16_bf16 v[18:21], v[28:29], v[18:19], 0
	v_mov_b32_e32 v45, 0
	s_and_saveexec_b64 s[0:1], s[26:27]
	s_cbranch_execz .LBB24_45
; %bb.42:                               ;   in Loop: Header=BB24_15 Depth=1
	ds_read_u16 v35, v57 offset:36
	ds_read_b32 v44, v57 offset:32
	s_waitcnt lgkmcnt(1)
	v_and_b32_e32 v45, 0xffff, v35
	s_and_saveexec_b64 s[56:57], s[8:9]
	s_cbranch_execz .LBB24_44
; %bb.43:                               ;   in Loop: Header=BB24_15 Depth=1
	ds_read_u16 v35, v59
	s_waitcnt lgkmcnt(0)
	v_perm_b32 v45, v35, v45, s65
.LBB24_44:                              ;   in Loop: Header=BB24_15 Depth=1
	s_or_b64 exec, exec, s[56:57]
.LBB24_45:                              ;   in Loop: Header=BB24_15 Depth=1
	s_or_b64 exec, exec, s[0:1]
	s_waitcnt lgkmcnt(0)
	v_mfma_f32_16x16x16_bf16 v[18:21], v[26:27], v[44:45], v[18:21]
	v_mov_b32_e32 v42, 0
	v_mov_b32_e32 v46, 0
	;; [unrolled: 1-line block ×3, first 2 shown]
	s_and_saveexec_b64 s[0:1], s[26:27]
	s_cbranch_execz .LBB24_49
; %bb.46:                               ;   in Loop: Header=BB24_15 Depth=1
	ds_read_u16 v35, v57 offset:68
	ds_read_b32 v46, v57 offset:64
	s_waitcnt lgkmcnt(1)
	v_and_b32_e32 v47, 0xffff, v35
	s_and_saveexec_b64 s[56:57], s[8:9]
	s_cbranch_execz .LBB24_48
; %bb.47:                               ;   in Loop: Header=BB24_15 Depth=1
	ds_read_u16 v35, v60
	s_waitcnt lgkmcnt(0)
	v_perm_b32 v47, v35, v47, s65
.LBB24_48:                              ;   in Loop: Header=BB24_15 Depth=1
	s_or_b64 exec, exec, s[56:57]
.LBB24_49:                              ;   in Loop: Header=BB24_15 Depth=1
	s_or_b64 exec, exec, s[0:1]
	s_waitcnt lgkmcnt(0)
	v_mfma_f32_16x16x16_bf16 v[18:21], v[32:33], v[46:47], v[18:21]
	v_mov_b32_e32 v43, 0
	s_and_saveexec_b64 s[0:1], s[26:27]
	s_cbranch_execz .LBB24_53
; %bb.50:                               ;   in Loop: Header=BB24_15 Depth=1
	ds_read_u16 v35, v57 offset:100
	ds_read_b32 v42, v57 offset:96
	s_waitcnt lgkmcnt(1)
	v_and_b32_e32 v43, 0xffff, v35
	s_and_saveexec_b64 s[56:57], s[8:9]
	s_cbranch_execz .LBB24_52
; %bb.51:                               ;   in Loop: Header=BB24_15 Depth=1
	ds_read_u16 v35, v61
	s_waitcnt lgkmcnt(0)
	v_perm_b32 v43, v35, v43, s65
.LBB24_52:                              ;   in Loop: Header=BB24_15 Depth=1
	s_or_b64 exec, exec, s[56:57]
.LBB24_53:                              ;   in Loop: Header=BB24_15 Depth=1
	s_or_b64 exec, exec, s[0:1]
	s_waitcnt lgkmcnt(0)
	v_mfma_f32_16x16x16_bf16 v[18:21], v[30:31], v[42:43], v[18:21]
	v_mov_b32_e32 v44, 0
	s_and_saveexec_b64 s[0:1], s[26:27]
	s_cbranch_execz .LBB24_55
; %bb.54:                               ;   in Loop: Header=BB24_15 Depth=1
	v_mov_b32_e32 v41, v34
	v_lshl_add_u64 v[40:41], v[40:41], 2, s[52:53]
	global_load_dword v44, v[40:41], off
.LBB24_55:                              ;   in Loop: Header=BB24_15 Depth=1
	s_or_b64 exec, exec, s[0:1]
	s_mov_b64 s[0:1], s[2:3]
                                        ; implicit-def: $vgpr40
	s_and_saveexec_b64 s[56:57], s[26:27]
	s_cbranch_execz .LBB24_59
; %bb.56:                               ;   in Loop: Header=BB24_15 Depth=1
	s_andn2_b64 s[0:1], s[2:3], exec
	s_and_b64 s[72:73], s[10:11], exec
	s_waitcnt vmcnt(0)
	v_add_f32_e32 v40, v44, v18
	s_or_b64 s[0:1], s[0:1], s[72:73]
	s_or_b64 exec, exec, s[56:57]
	s_and_saveexec_b64 s[56:57], s[0:1]
	s_branch .LBB24_60
.LBB24_57:                              ;   in Loop: Header=BB24_15 Depth=1
	s_andn2_saveexec_b64 s[0:1], s[0:1]
	s_cbranch_execz .LBB24_24
.LBB24_58:                              ;   in Loop: Header=BB24_15 Depth=1
	s_andn2_b64 s[56:57], s[56:57], exec
	s_and_b64 s[72:73], s[30:31], exec
	v_mov_b32_e32 v18, 0
	s_or_b64 s[56:57], s[56:57], s[72:73]
	s_or_b64 exec, exec, s[0:1]
	s_and_saveexec_b64 s[0:1], s[56:57]
	s_cbranch_execnz .LBB24_25
	s_branch .LBB24_26
.LBB24_59:                              ;   in Loop: Header=BB24_15 Depth=1
	s_or_b64 exec, exec, s[56:57]
	s_and_saveexec_b64 s[56:57], s[0:1]
.LBB24_60:                              ;   in Loop: Header=BB24_15 Depth=1
	v_mov_b32_e32 v40, 0xff800000
; %bb.61:                               ;   in Loop: Header=BB24_15 Depth=1
	s_or_b64 exec, exec, s[56:57]
	s_mov_b64 s[0:1], s[2:3]
                                        ; implicit-def: $vgpr41
	s_and_saveexec_b64 s[56:57], s[26:27]
	s_cbranch_execz .LBB24_63
; %bb.62:                               ;   in Loop: Header=BB24_15 Depth=1
	s_andn2_b64 s[0:1], s[2:3], exec
	s_and_b64 s[72:73], s[14:15], exec
	s_waitcnt vmcnt(0)
	v_add_f32_e32 v41, v44, v19
	s_or_b64 s[0:1], s[0:1], s[72:73]
	s_or_b64 exec, exec, s[56:57]
	s_and_saveexec_b64 s[56:57], s[0:1]
	s_branch .LBB24_64
.LBB24_63:                              ;   in Loop: Header=BB24_15 Depth=1
	s_or_b64 exec, exec, s[56:57]
	s_and_saveexec_b64 s[56:57], s[0:1]
.LBB24_64:                              ;   in Loop: Header=BB24_15 Depth=1
	v_mov_b32_e32 v41, 0xff800000
; %bb.65:                               ;   in Loop: Header=BB24_15 Depth=1
	s_or_b64 exec, exec, s[56:57]
	s_mov_b64 s[0:1], s[2:3]
                                        ; implicit-def: $vgpr42
	s_and_saveexec_b64 s[56:57], s[26:27]
	s_cbranch_execz .LBB24_67
; %bb.66:                               ;   in Loop: Header=BB24_15 Depth=1
	s_andn2_b64 s[0:1], s[2:3], exec
	s_and_b64 s[72:73], s[18:19], exec
	s_waitcnt vmcnt(0)
	v_add_f32_e32 v42, v44, v20
	s_or_b64 s[0:1], s[0:1], s[72:73]
	s_or_b64 exec, exec, s[56:57]
	s_and_saveexec_b64 s[56:57], s[0:1]
	s_branch .LBB24_68
.LBB24_67:                              ;   in Loop: Header=BB24_15 Depth=1
	s_or_b64 exec, exec, s[56:57]
	s_and_saveexec_b64 s[56:57], s[0:1]
.LBB24_68:                              ;   in Loop: Header=BB24_15 Depth=1
	v_mov_b32_e32 v42, 0xff800000
; %bb.69:                               ;   in Loop: Header=BB24_15 Depth=1
	s_or_b64 exec, exec, s[56:57]
	s_mov_b64 s[0:1], s[2:3]
                                        ; implicit-def: $vgpr35
	s_and_saveexec_b64 s[56:57], s[26:27]
	s_cbranch_execz .LBB24_71
; %bb.70:                               ;   in Loop: Header=BB24_15 Depth=1
	s_andn2_b64 s[0:1], s[2:3], exec
	s_and_b64 s[72:73], s[22:23], exec
	s_waitcnt vmcnt(0)
	v_add_f32_e32 v35, v44, v21
	s_or_b64 s[0:1], s[0:1], s[72:73]
	s_or_b64 exec, exec, s[56:57]
	s_and_saveexec_b64 s[56:57], s[0:1]
	s_cbranch_execnz .LBB24_72
	s_branch .LBB24_73
.LBB24_71:                              ;   in Loop: Header=BB24_15 Depth=1
	s_or_b64 exec, exec, s[56:57]
	s_and_saveexec_b64 s[56:57], s[0:1]
.LBB24_72:                              ;   in Loop: Header=BB24_15 Depth=1
	v_mov_b32_e32 v35, 0xff800000
.LBB24_73:                              ;   in Loop: Header=BB24_15 Depth=1
	s_or_b64 exec, exec, s[56:57]
	ds_bpermute_b32 v18, v62, v40
	v_max_f32_e32 v19, v40, v40
	ds_bpermute_b32 v20, v62, v41
	v_max_f32_e32 v21, v41, v41
	ds_bpermute_b32 v43, v62, v42
	s_waitcnt lgkmcnt(2)
	v_max_f32_e32 v18, v18, v18
	v_max_f32_e32 v18, v19, v18
	ds_bpermute_b32 v19, v63, v18
	s_waitcnt lgkmcnt(2)
	v_max_f32_e32 v20, v20, v20
	v_max_f32_e32 v20, v21, v20
	ds_bpermute_b32 v21, v63, v20
	ds_bpermute_b32 v45, v62, v35
	s_waitcnt lgkmcnt(2)
	v_max_f32_e32 v19, v19, v19
	v_max_f32_e32 v18, v18, v19
	ds_bpermute_b32 v19, v64, v18
	s_waitcnt lgkmcnt(2)
	v_max_f32_e32 v21, v21, v21
	v_max_f32_e32 v20, v20, v21
	ds_bpermute_b32 v21, v64, v20
	s_waitcnt vmcnt(0)
	v_max_f32_e32 v44, v42, v42
	s_waitcnt lgkmcnt(1)
	v_max_f32_e32 v19, v19, v19
	v_max_f32_e32 v18, v18, v19
	ds_bpermute_b32 v19, v65, v18
	v_max_f32_e32 v43, v43, v43
	s_waitcnt lgkmcnt(1)
	v_max_f32_e32 v21, v21, v21
	v_max_f32_e32 v21, v20, v21
	ds_bpermute_b32 v46, v65, v21
	s_waitcnt lgkmcnt(1)
	v_max_f32_e32 v19, v19, v19
	v_max_f32_e32 v18, v18, v19
	ds_bpermute_b32 v20, v23, v18
	v_max_f32_e32 v18, v44, v43
	ds_bpermute_b32 v19, v63, v18
	v_max_f32_e32 v43, v45, v45
	v_max_f32_e32 v44, v35, v35
	;; [unrolled: 1-line block ×3, first 2 shown]
	ds_bpermute_b32 v44, v63, v43
	s_waitcnt lgkmcnt(1)
	v_max_f32_e32 v19, v19, v19
	v_max_f32_e32 v18, v18, v19
	ds_bpermute_b32 v19, v64, v18
	v_max_f32_e32 v45, v46, v46
	s_waitcnt lgkmcnt(1)
	v_max_f32_e32 v44, v44, v44
	v_max_f32_e32 v43, v43, v44
	ds_bpermute_b32 v44, v64, v43
	s_waitcnt lgkmcnt(1)
	v_max_f32_e32 v19, v19, v19
	v_max_f32_e32 v18, v18, v19
	ds_bpermute_b32 v19, v65, v18
	v_max_f32_e32 v21, v21, v45
	s_waitcnt lgkmcnt(1)
	v_max_f32_e32 v44, v44, v44
	v_max_f32_e32 v43, v43, v44
	ds_bpermute_b32 v44, v65, v43
	s_waitcnt lgkmcnt(1)
	v_max_f32_e32 v19, v19, v19
	v_max_f32_e32 v18, v18, v19
	ds_bpermute_b32 v19, v23, v18
	ds_bpermute_b32 v21, v23, v21
	s_waitcnt lgkmcnt(2)
	v_max_f32_e32 v18, v44, v44
	v_max_f32_e32 v18, v43, v18
	ds_bpermute_b32 v18, v23, v18
	s_and_saveexec_b64 s[0:1], s[6:7]
	s_cbranch_execz .LBB24_78
; %bb.74:                               ;   in Loop: Header=BB24_15 Depth=1
	ds_read_b32 v43, v82
	v_max_f32_e32 v20, v20, v20
	s_waitcnt lgkmcnt(0)
	ds_write_b32 v81, v43
	v_max_f32_e32 v43, v43, v43
	v_max_f32_e32 v20, v43, v20
	ds_write_b32 v82, v20
	s_and_saveexec_b64 s[56:57], s[24:25]
	s_cbranch_execz .LBB24_99
; %bb.75:                               ;   in Loop: Header=BB24_15 Depth=1
	ds_read_b32 v20, v67 offset:4
	v_max_f32_e32 v21, v21, v21
	s_waitcnt lgkmcnt(0)
	ds_write_b32 v66, v20 offset:4
	v_max_f32_e32 v20, v20, v20
	v_max_f32_e32 v20, v20, v21
	ds_write_b32 v67, v20 offset:4
	s_or_b64 exec, exec, s[56:57]
	s_and_saveexec_b64 s[56:57], s[24:25]
	s_cbranch_execnz .LBB24_100
.LBB24_76:                              ;   in Loop: Header=BB24_15 Depth=1
	s_or_b64 exec, exec, s[56:57]
	s_and_b64 exec, exec, s[24:25]
	s_cbranch_execz .LBB24_78
.LBB24_77:                              ;   in Loop: Header=BB24_15 Depth=1
	ds_read_b32 v19, v67 offset:12
	v_max_f32_e32 v18, v18, v18
	s_waitcnt lgkmcnt(0)
	ds_write_b32 v66, v19 offset:12
	v_max_f32_e32 v19, v19, v19
	v_max_f32_e32 v18, v19, v18
	ds_write_b32 v67, v18 offset:12
.LBB24_78:                              ;   in Loop: Header=BB24_15 Depth=1
	s_or_b64 exec, exec, s[0:1]
	s_waitcnt lgkmcnt(0)
	v_mov_b32_e32 v18, 0
	v_mov_b32_e32 v19, 0
	s_barrier
	s_and_saveexec_b64 s[0:1], s[26:27]
	s_cbranch_execz .LBB24_80
; %bb.79:                               ;   in Loop: Header=BB24_15 Depth=1
	ds_read_b32 v19, v82
	s_waitcnt lgkmcnt(0)
	v_sub_f32_e32 v20, v40, v19
	v_mul_f32_e32 v20, 0x3fb8aa3b, v20
	v_exp_f32_e32 v20, v20
	v_cmp_lg_f32_e32 vcc, s66, v19
	s_and_b64 vcc, s[4:5], vcc
	s_nop 0
	v_cndmask_b32_e32 v19, 0, v20, vcc
.LBB24_80:                              ;   in Loop: Header=BB24_15 Depth=1
	s_or_b64 exec, exec, s[0:1]
	ds_bpermute_b32 v20, v62, v19
	s_waitcnt lgkmcnt(0)
	v_add_f32_e32 v20, v19, v20
	ds_bpermute_b32 v21, v63, v20
	s_waitcnt lgkmcnt(0)
	v_add_f32_e32 v20, v20, v21
	;; [unrolled: 3-line block ×4, first 2 shown]
	ds_bpermute_b32 v43, v23, v20
	s_and_saveexec_b64 s[0:1], s[26:27]
	s_cbranch_execz .LBB24_82
; %bb.81:                               ;   in Loop: Header=BB24_15 Depth=1
	ds_read_b32 v18, v82 offset:4
	s_waitcnt lgkmcnt(0)
	v_sub_f32_e32 v20, v41, v18
	v_mul_f32_e32 v20, 0x3fb8aa3b, v20
	v_exp_f32_e32 v20, v20
	v_cmp_lg_f32_e32 vcc, s66, v18
	s_and_b64 vcc, s[12:13], vcc
	s_nop 0
	v_cndmask_b32_e32 v18, 0, v20, vcc
.LBB24_82:                              ;   in Loop: Header=BB24_15 Depth=1
	s_or_b64 exec, exec, s[0:1]
	ds_bpermute_b32 v20, v62, v18
	s_waitcnt lgkmcnt(0)
	v_add_f32_e32 v20, v18, v20
	ds_bpermute_b32 v21, v63, v20
	s_waitcnt lgkmcnt(0)
	v_add_f32_e32 v20, v20, v21
	;; [unrolled: 3-line block ×4, first 2 shown]
	ds_bpermute_b32 v41, v23, v20
	v_mov_b32_e32 v20, 0
	s_and_saveexec_b64 s[0:1], s[26:27]
	s_cbranch_execz .LBB24_84
; %bb.83:                               ;   in Loop: Header=BB24_15 Depth=1
	ds_read_b32 v20, v82 offset:8
	s_waitcnt lgkmcnt(0)
	v_sub_f32_e32 v21, v42, v20
	v_mul_f32_e32 v21, 0x3fb8aa3b, v21
	v_exp_f32_e32 v21, v21
	v_cmp_lg_f32_e32 vcc, s66, v20
	s_and_b64 vcc, s[16:17], vcc
	s_nop 0
	v_cndmask_b32_e32 v20, 0, v21, vcc
.LBB24_84:                              ;   in Loop: Header=BB24_15 Depth=1
	s_or_b64 exec, exec, s[0:1]
	ds_bpermute_b32 v21, v62, v20
	v_mov_b32_e32 v42, 0xff800000
	s_waitcnt lgkmcnt(0)
	v_add_f32_e32 v21, v20, v21
	ds_bpermute_b32 v40, v63, v21
	s_waitcnt lgkmcnt(0)
	v_add_f32_e32 v21, v21, v40
	ds_bpermute_b32 v40, v64, v21
	;; [unrolled: 3-line block ×4, first 2 shown]
	s_and_saveexec_b64 s[0:1], s[24:25]
; %bb.85:                               ;   in Loop: Header=BB24_15 Depth=1
	ds_read_b32 v42, v68
; %bb.86:                               ;   in Loop: Header=BB24_15 Depth=1
	s_or_b64 exec, exec, s[0:1]
	v_mov_b32_e32 v21, 0
	s_and_saveexec_b64 s[0:1], s[26:27]
	s_cbranch_execz .LBB24_88
; %bb.87:                               ;   in Loop: Header=BB24_15 Depth=1
	s_waitcnt lgkmcnt(0)
	v_sub_f32_e32 v21, v35, v42
	v_mul_f32_e32 v21, 0x3fb8aa3b, v21
	v_exp_f32_e32 v21, v21
	v_cmp_lg_f32_e32 vcc, s66, v42
	s_and_b64 vcc, s[20:21], vcc
	s_nop 0
	v_cndmask_b32_e32 v21, 0, v21, vcc
.LBB24_88:                              ;   in Loop: Header=BB24_15 Depth=1
	s_or_b64 exec, exec, s[0:1]
	ds_bpermute_b32 v35, v62, v21
	s_waitcnt lgkmcnt(0)
	v_add_f32_e32 v35, v21, v35
	ds_bpermute_b32 v42, v63, v35
	s_waitcnt lgkmcnt(0)
	v_add_f32_e32 v35, v35, v42
	;; [unrolled: 3-line block ×4, first 2 shown]
	ds_bpermute_b32 v35, v23, v35
	s_and_saveexec_b64 s[26:27], s[6:7]
	s_cbranch_execz .LBB24_117
; %bb.89:                               ;   in Loop: Header=BB24_15 Depth=1
	s_and_saveexec_b64 s[0:1], s[10:11]
	s_xor_b64 s[0:1], exec, s[0:1]
	s_cbranch_execz .LBB24_101
; %bb.90:                               ;   in Loop: Header=BB24_15 Depth=1
	ds_write_b32 v84, v34
	ds_write_b32 v83, v34
                                        ; implicit-def: $vgpr43
	s_andn2_saveexec_b64 s[56:57], s[0:1]
	s_cbranch_execnz .LBB24_102
.LBB24_91:                              ;   in Loop: Header=BB24_15 Depth=1
	s_or_b64 exec, exec, s[56:57]
	s_and_saveexec_b64 s[0:1], s[14:15]
	s_xor_b64 s[0:1], exec, s[0:1]
	s_cbranch_execz .LBB24_105
.LBB24_92:                              ;   in Loop: Header=BB24_15 Depth=1
	ds_write_b32 v84, v34 offset:4
	ds_write_b32 v83, v34 offset:4
                                        ; implicit-def: $vgpr41
	s_andn2_saveexec_b64 s[56:57], s[0:1]
	s_cbranch_execnz .LBB24_106
.LBB24_93:                              ;   in Loop: Header=BB24_15 Depth=1
	s_or_b64 exec, exec, s[56:57]
	s_and_saveexec_b64 s[0:1], s[18:19]
	s_xor_b64 s[0:1], exec, s[0:1]
	s_cbranch_execz .LBB24_109
.LBB24_94:                              ;   in Loop: Header=BB24_15 Depth=1
	ds_write_b32 v84, v34 offset:8
	ds_write_b32 v83, v34 offset:8
                                        ; implicit-def: $vgpr40
	s_andn2_saveexec_b64 s[56:57], s[0:1]
	s_cbranch_execnz .LBB24_110
.LBB24_95:                              ;   in Loop: Header=BB24_15 Depth=1
	s_or_b64 exec, exec, s[56:57]
	s_and_saveexec_b64 s[0:1], s[22:23]
	s_xor_b64 s[0:1], exec, s[0:1]
	s_cbranch_execz .LBB24_113
.LBB24_96:                              ;   in Loop: Header=BB24_15 Depth=1
	s_and_saveexec_b64 s[56:57], s[24:25]
	s_cbranch_execz .LBB24_98
; %bb.97:                               ;   in Loop: Header=BB24_15 Depth=1
	ds_write_b32 v70, v34
	ds_write_b32 v69, v34
.LBB24_98:                              ;   in Loop: Header=BB24_15 Depth=1
	s_or_b64 exec, exec, s[56:57]
                                        ; implicit-def: $vgpr35
	s_andn2_saveexec_b64 s[0:1], s[0:1]
	s_cbranch_execz .LBB24_117
	s_branch .LBB24_114
.LBB24_99:                              ;   in Loop: Header=BB24_15 Depth=1
	s_or_b64 exec, exec, s[56:57]
	s_and_saveexec_b64 s[56:57], s[24:25]
	s_cbranch_execz .LBB24_76
.LBB24_100:                             ;   in Loop: Header=BB24_15 Depth=1
	ds_read_b32 v20, v67 offset:8
	v_max_f32_e32 v19, v19, v19
	s_waitcnt lgkmcnt(0)
	ds_write_b32 v66, v20 offset:8
	v_max_f32_e32 v20, v20, v20
	v_max_f32_e32 v19, v20, v19
	ds_write_b32 v67, v19 offset:8
	s_or_b64 exec, exec, s[56:57]
	s_and_b64 exec, exec, s[24:25]
	s_cbranch_execnz .LBB24_77
	s_branch .LBB24_78
.LBB24_101:                             ;   in Loop: Header=BB24_15 Depth=1
	s_andn2_saveexec_b64 s[56:57], s[0:1]
	s_cbranch_execz .LBB24_91
.LBB24_102:                             ;   in Loop: Header=BB24_15 Depth=1
	ds_read_b32 v45, v81
	ds_read_b32 v42, v85
	v_mov_b32_e32 v44, 0
	s_waitcnt lgkmcnt(1)
	v_cmp_neq_f32_e32 vcc, s66, v45
	s_and_saveexec_b64 s[0:1], vcc
	s_cbranch_execz .LBB24_104
; %bb.103:                              ;   in Loop: Header=BB24_15 Depth=1
	ds_read_b32 v44, v82
	s_waitcnt lgkmcnt(0)
	v_sub_f32_e32 v44, v45, v44
	v_mul_f32_e32 v44, 0x3fb8aa3b, v44
	v_exp_f32_e32 v44, v44
.LBB24_104:                             ;   in Loop: Header=BB24_15 Depth=1
	s_or_b64 exec, exec, s[0:1]
	s_waitcnt lgkmcnt(0)
	v_mul_f32_e32 v45, v42, v44
	v_fmac_f32_e32 v43, v42, v44
	v_div_scale_f32 v42, s[0:1], v43, v43, v45
	v_rcp_f32_e32 v44, v42
	s_nop 0
	v_fma_f32 v46, -v42, v44, 1.0
	v_fmac_f32_e32 v44, v46, v44
	v_div_scale_f32 v46, vcc, v45, v43, v45
	v_mul_f32_e32 v47, v46, v44
	v_fma_f32 v86, -v42, v47, v46
	v_fmac_f32_e32 v47, v86, v44
	v_fma_f32 v42, -v42, v47, v46
	v_div_fmas_f32 v42, v42, v44, v47
	v_div_scale_f32 v44, s[0:1], v43, v43, 1.0
	v_rcp_f32_e32 v46, v44
	v_div_fixup_f32 v42, v42, v43, v45
	v_cmp_lt_f32_e64 s[0:1], 0, v43
	v_fma_f32 v45, -v44, v46, 1.0
	v_fmac_f32_e32 v46, v45, v46
	v_div_scale_f32 v45, vcc, 1.0, v43, 1.0
	v_mul_f32_e32 v47, v45, v46
	v_fma_f32 v86, -v44, v47, v45
	v_fmac_f32_e32 v47, v86, v46
	v_fma_f32 v44, -v44, v47, v45
	v_div_fmas_f32 v44, v44, v46, v47
	v_cndmask_b32_e64 v42, 0, v42, s[0:1]
	v_div_fixup_f32 v44, v44, v43, 1.0
	v_cndmask_b32_e64 v44, 0, v44, s[0:1]
	ds_write_b32 v84, v42
	ds_write_b32 v83, v44
	;; [unrolled: 1-line block ×3, first 2 shown]
	s_or_b64 exec, exec, s[56:57]
	s_and_saveexec_b64 s[0:1], s[14:15]
	s_xor_b64 s[0:1], exec, s[0:1]
	s_cbranch_execnz .LBB24_92
.LBB24_105:                             ;   in Loop: Header=BB24_15 Depth=1
	s_andn2_saveexec_b64 s[56:57], s[0:1]
	s_cbranch_execz .LBB24_93
.LBB24_106:                             ;   in Loop: Header=BB24_15 Depth=1
	ds_read_b32 v44, v81 offset:4
	ds_read_b32 v42, v85 offset:4
	v_mov_b32_e32 v43, 0
	s_waitcnt lgkmcnt(1)
	v_cmp_neq_f32_e32 vcc, s66, v44
	s_and_saveexec_b64 s[0:1], vcc
	s_cbranch_execz .LBB24_108
; %bb.107:                              ;   in Loop: Header=BB24_15 Depth=1
	ds_read_b32 v43, v82 offset:4
	s_waitcnt lgkmcnt(0)
	v_sub_f32_e32 v43, v44, v43
	v_mul_f32_e32 v43, 0x3fb8aa3b, v43
	v_exp_f32_e32 v43, v43
.LBB24_108:                             ;   in Loop: Header=BB24_15 Depth=1
	s_or_b64 exec, exec, s[0:1]
	s_waitcnt lgkmcnt(0)
	v_mul_f32_e32 v44, v42, v43
	v_fmac_f32_e32 v41, v42, v43
	v_div_scale_f32 v42, s[0:1], v41, v41, v44
	v_rcp_f32_e32 v43, v42
	s_nop 0
	v_fma_f32 v45, -v42, v43, 1.0
	v_fmac_f32_e32 v43, v45, v43
	v_div_scale_f32 v45, vcc, v44, v41, v44
	v_mul_f32_e32 v46, v45, v43
	v_fma_f32 v47, -v42, v46, v45
	v_fmac_f32_e32 v46, v47, v43
	v_fma_f32 v42, -v42, v46, v45
	v_div_fmas_f32 v42, v42, v43, v46
	v_div_scale_f32 v43, s[0:1], v41, v41, 1.0
	v_rcp_f32_e32 v45, v43
	v_div_fixup_f32 v42, v42, v41, v44
	v_cmp_lt_f32_e64 s[0:1], 0, v41
	v_fma_f32 v44, -v43, v45, 1.0
	v_fmac_f32_e32 v45, v44, v45
	v_div_scale_f32 v44, vcc, 1.0, v41, 1.0
	v_mul_f32_e32 v46, v44, v45
	v_fma_f32 v47, -v43, v46, v44
	v_fmac_f32_e32 v46, v47, v45
	v_fma_f32 v43, -v43, v46, v44
	v_div_fmas_f32 v43, v43, v45, v46
	v_cndmask_b32_e64 v42, 0, v42, s[0:1]
	v_div_fixup_f32 v43, v43, v41, 1.0
	v_cndmask_b32_e64 v43, 0, v43, s[0:1]
	ds_write_b32 v84, v42 offset:4
	ds_write_b32 v83, v43 offset:4
	;; [unrolled: 1-line block ×3, first 2 shown]
	s_or_b64 exec, exec, s[56:57]
	s_and_saveexec_b64 s[0:1], s[18:19]
	s_xor_b64 s[0:1], exec, s[0:1]
	s_cbranch_execnz .LBB24_94
.LBB24_109:                             ;   in Loop: Header=BB24_15 Depth=1
	s_andn2_saveexec_b64 s[56:57], s[0:1]
	s_cbranch_execz .LBB24_95
.LBB24_110:                             ;   in Loop: Header=BB24_15 Depth=1
	ds_read_b32 v43, v81 offset:8
	ds_read_b32 v41, v85 offset:8
	v_mov_b32_e32 v42, 0
	s_waitcnt lgkmcnt(1)
	v_cmp_neq_f32_e32 vcc, s66, v43
	s_and_saveexec_b64 s[0:1], vcc
	s_cbranch_execz .LBB24_112
; %bb.111:                              ;   in Loop: Header=BB24_15 Depth=1
	ds_read_b32 v42, v82 offset:8
	s_waitcnt lgkmcnt(0)
	v_sub_f32_e32 v42, v43, v42
	v_mul_f32_e32 v42, 0x3fb8aa3b, v42
	v_exp_f32_e32 v42, v42
.LBB24_112:                             ;   in Loop: Header=BB24_15 Depth=1
	s_or_b64 exec, exec, s[0:1]
	s_waitcnt lgkmcnt(0)
	v_mul_f32_e32 v43, v41, v42
	v_fmac_f32_e32 v40, v41, v42
	v_div_scale_f32 v41, s[0:1], v40, v40, v43
	v_rcp_f32_e32 v42, v41
	s_nop 0
	v_fma_f32 v44, -v41, v42, 1.0
	v_fmac_f32_e32 v42, v44, v42
	v_div_scale_f32 v44, vcc, v43, v40, v43
	v_mul_f32_e32 v45, v44, v42
	v_fma_f32 v46, -v41, v45, v44
	v_fmac_f32_e32 v45, v46, v42
	v_fma_f32 v41, -v41, v45, v44
	v_div_fmas_f32 v41, v41, v42, v45
	v_div_scale_f32 v42, s[0:1], v40, v40, 1.0
	v_rcp_f32_e32 v44, v42
	v_div_fixup_f32 v41, v41, v40, v43
	v_cmp_lt_f32_e64 s[0:1], 0, v40
	v_fma_f32 v43, -v42, v44, 1.0
	v_fmac_f32_e32 v44, v43, v44
	v_div_scale_f32 v43, vcc, 1.0, v40, 1.0
	v_mul_f32_e32 v45, v43, v44
	v_fma_f32 v46, -v42, v45, v43
	v_fmac_f32_e32 v45, v46, v44
	v_fma_f32 v42, -v42, v45, v43
	v_div_fmas_f32 v42, v42, v44, v45
	v_cndmask_b32_e64 v41, 0, v41, s[0:1]
	v_div_fixup_f32 v42, v42, v40, 1.0
	v_cndmask_b32_e64 v42, 0, v42, s[0:1]
	ds_write_b32 v84, v41 offset:8
	ds_write_b32 v83, v42 offset:8
	;; [unrolled: 1-line block ×3, first 2 shown]
	s_or_b64 exec, exec, s[56:57]
	s_and_saveexec_b64 s[0:1], s[22:23]
	s_xor_b64 s[0:1], exec, s[0:1]
	s_cbranch_execnz .LBB24_96
.LBB24_113:                             ;   in Loop: Header=BB24_15 Depth=1
	s_andn2_saveexec_b64 s[0:1], s[0:1]
	s_cbranch_execz .LBB24_117
.LBB24_114:                             ;   in Loop: Header=BB24_15 Depth=1
	ds_read_b32 v42, v71
	ds_read_b32 v40, v72
	v_mov_b32_e32 v41, 0
	s_waitcnt lgkmcnt(1)
	v_cmp_neq_f32_e32 vcc, s66, v42
	s_and_saveexec_b64 s[0:1], vcc
	s_cbranch_execz .LBB24_116
; %bb.115:                              ;   in Loop: Header=BB24_15 Depth=1
	ds_read_b32 v41, v68
	s_waitcnt lgkmcnt(0)
	v_sub_f32_e32 v41, v42, v41
	v_mul_f32_e32 v41, 0x3fb8aa3b, v41
	v_exp_f32_e32 v41, v41
.LBB24_116:                             ;   in Loop: Header=BB24_15 Depth=1
	s_or_b64 exec, exec, s[0:1]
	s_waitcnt lgkmcnt(0)
	v_mul_f32_e32 v42, v40, v41
	v_fmac_f32_e32 v35, v40, v41
	v_div_scale_f32 v40, s[0:1], v35, v35, v42
	v_rcp_f32_e32 v41, v40
	s_nop 0
	v_fma_f32 v43, -v40, v41, 1.0
	v_fmac_f32_e32 v41, v43, v41
	v_div_scale_f32 v43, vcc, v42, v35, v42
	v_mul_f32_e32 v44, v43, v41
	v_fma_f32 v45, -v40, v44, v43
	v_fmac_f32_e32 v44, v45, v41
	v_fma_f32 v40, -v40, v44, v43
	v_div_fmas_f32 v40, v40, v41, v44
	v_div_scale_f32 v41, s[0:1], v35, v35, 1.0
	v_rcp_f32_e32 v43, v41
	v_div_fixup_f32 v40, v40, v35, v42
	v_cmp_lt_f32_e64 s[0:1], 0, v35
	v_fma_f32 v42, -v41, v43, 1.0
	v_fmac_f32_e32 v43, v42, v43
	v_div_scale_f32 v42, vcc, 1.0, v35, 1.0
	v_mul_f32_e32 v44, v42, v43
	v_fma_f32 v45, -v41, v44, v42
	v_fmac_f32_e32 v44, v45, v43
	v_fma_f32 v41, -v41, v44, v42
	v_div_fmas_f32 v41, v41, v43, v44
	v_cndmask_b32_e64 v40, 0, v40, s[0:1]
	v_div_fixup_f32 v41, v41, v35, 1.0
	v_cndmask_b32_e64 v41, 0, v41, s[0:1]
	ds_write_b32 v70, v40
	ds_write_b32 v69, v41
	;; [unrolled: 1-line block ×3, first 2 shown]
.LBB24_117:                             ;   in Loop: Header=BB24_15 Depth=1
	s_or_b64 exec, exec, s[26:27]
	s_waitcnt lgkmcnt(0)
	v_mov_b32_e32 v35, 0
	v_mov_b32_e32 v47, 0
	s_barrier
	s_and_saveexec_b64 s[0:1], s[4:5]
; %bb.118:                              ;   in Loop: Header=BB24_15 Depth=1
	ds_read_b32 v47, v84
; %bb.119:                              ;   in Loop: Header=BB24_15 Depth=1
	s_or_b64 exec, exec, s[0:1]
	s_nor_b64 s[26:27], s[2:3], s[10:11]
	s_and_saveexec_b64 s[0:1], s[26:27]
	s_cbranch_execz .LBB24_121
; %bb.120:                              ;   in Loop: Header=BB24_15 Depth=1
	ds_read_b32 v35, v83
	s_waitcnt lgkmcnt(0)
	v_mul_f32_e32 v19, v19, v35
	v_cvt_pk_bf16_f32 v35, v19, s0
.LBB24_121:                             ;   in Loop: Header=BB24_15 Depth=1
	s_or_b64 exec, exec, s[0:1]
	v_mov_b32_e32 v19, 0
	v_mov_b32_e32 v46, 0
	ds_write_b16 v73, v35
	s_and_saveexec_b64 s[0:1], s[12:13]
; %bb.122:                              ;   in Loop: Header=BB24_15 Depth=1
	ds_read_b32 v46, v84 offset:4
; %bb.123:                              ;   in Loop: Header=BB24_15 Depth=1
	s_or_b64 exec, exec, s[0:1]
	s_nor_b64 s[26:27], s[2:3], s[14:15]
	s_and_saveexec_b64 s[0:1], s[26:27]
	s_cbranch_execz .LBB24_125
; %bb.124:                              ;   in Loop: Header=BB24_15 Depth=1
	ds_read_b32 v19, v83 offset:4
	s_waitcnt lgkmcnt(0)
	v_mul_f32_e32 v18, v18, v19
	v_cvt_pk_bf16_f32 v19, v18, s0
.LBB24_125:                             ;   in Loop: Header=BB24_15 Depth=1
	s_or_b64 exec, exec, s[0:1]
	v_mov_b32_e32 v18, 0
	v_mov_b32_e32 v86, 0
	ds_write_b16 v73, v19 offset:32
	s_and_saveexec_b64 s[0:1], s[16:17]
; %bb.126:                              ;   in Loop: Header=BB24_15 Depth=1
	ds_read_b32 v86, v84 offset:8
; %bb.127:                              ;   in Loop: Header=BB24_15 Depth=1
	s_or_b64 exec, exec, s[0:1]
	s_nor_b64 s[26:27], s[2:3], s[18:19]
	s_and_saveexec_b64 s[0:1], s[26:27]
	s_cbranch_execz .LBB24_129
; %bb.128:                              ;   in Loop: Header=BB24_15 Depth=1
	ds_read_b32 v18, v83 offset:8
	s_waitcnt lgkmcnt(0)
	v_mul_f32_e32 v18, v20, v18
	v_cvt_pk_bf16_f32 v18, v18, s0
.LBB24_129:                             ;   in Loop: Header=BB24_15 Depth=1
	s_or_b64 exec, exec, s[0:1]
	ds_write_b16 v73, v18 offset:64
	v_mov_b32_e32 v18, 0
	v_mov_b32_e32 v87, 0
	s_and_saveexec_b64 s[0:1], s[20:21]
	s_cbranch_execz .LBB24_138
; %bb.130:                              ;   in Loop: Header=BB24_15 Depth=1
	ds_read_b32 v87, v70
	s_or_b64 exec, exec, s[0:1]
	s_nor_b64 s[2:3], s[2:3], s[22:23]
	s_and_saveexec_b64 s[0:1], s[2:3]
	s_cbranch_execnz .LBB24_139
.LBB24_131:                             ;   in Loop: Header=BB24_15 Depth=1
	s_or_b64 exec, exec, s[0:1]
	s_and_saveexec_b64 s[0:1], s[24:25]
.LBB24_132:                             ;   in Loop: Header=BB24_15 Depth=1
	ds_write_b16 v74, v18
.LBB24_133:                             ;   in Loop: Header=BB24_15 Depth=1
	s_or_b64 exec, exec, s[0:1]
	v_mov_b32_e32 v35, v34
	v_mov_b64_e32 v[18:19], v[34:35]
	s_waitcnt lgkmcnt(0)
	s_barrier
	s_and_saveexec_b64 s[0:1], s[28:29]
	s_cbranch_execz .LBB24_145
; %bb.134:                              ;   in Loop: Header=BB24_15 Depth=1
	v_mov_b32_e32 v35, v34
	v_cmp_gt_u32_e32 vcc, s70, v49
	v_mov_b64_e32 v[18:19], v[34:35]
	s_and_saveexec_b64 s[2:3], vcc
	s_cbranch_execz .LBB24_140
; %bb.135:                              ;   in Loop: Header=BB24_15 Depth=1
	ds_read_u16 v18, v75
	v_mov_b32_e32 v19, v34
	s_waitcnt lgkmcnt(0)
	v_and_b32_e32 v18, 0xffff, v18
	s_or_b64 exec, exec, s[2:3]
	v_cmp_gt_u32_e32 vcc, s71, v51
	s_and_saveexec_b64 s[2:3], vcc
	s_cbranch_execnz .LBB24_141
.LBB24_136:                             ;   in Loop: Header=BB24_15 Depth=1
	s_or_b64 exec, exec, s[2:3]
	v_cmp_gt_u32_e32 vcc, s71, v50
	s_and_saveexec_b64 s[2:3], vcc
	s_cbranch_execz .LBB24_142
.LBB24_137:                             ;   in Loop: Header=BB24_15 Depth=1
	ds_read_u16 v20, v75 offset:4
	s_waitcnt lgkmcnt(0)
	v_bfi_b32 v19, s67, v20, v19
	s_or_b64 exec, exec, s[2:3]
	v_cmp_gt_u32_e32 vcc, s71, v25
	s_and_saveexec_b64 s[2:3], vcc
	s_cbranch_execnz .LBB24_143
	s_branch .LBB24_144
.LBB24_138:                             ;   in Loop: Header=BB24_15 Depth=1
	s_or_b64 exec, exec, s[0:1]
	s_nor_b64 s[2:3], s[2:3], s[22:23]
	s_and_saveexec_b64 s[0:1], s[2:3]
	s_cbranch_execz .LBB24_131
.LBB24_139:                             ;   in Loop: Header=BB24_15 Depth=1
	ds_read_b32 v18, v69
	s_waitcnt lgkmcnt(0)
	v_mul_f32_e32 v18, v21, v18
	v_cvt_pk_bf16_f32 v18, v18, s0
	s_or_b64 exec, exec, s[0:1]
	s_and_saveexec_b64 s[0:1], s[24:25]
	s_cbranch_execnz .LBB24_132
	s_branch .LBB24_133
.LBB24_140:                             ;   in Loop: Header=BB24_15 Depth=1
	s_or_b64 exec, exec, s[2:3]
	v_cmp_gt_u32_e32 vcc, s71, v51
	s_and_saveexec_b64 s[2:3], vcc
	s_cbranch_execz .LBB24_136
.LBB24_141:                             ;   in Loop: Header=BB24_15 Depth=1
	ds_read_u16 v20, v75 offset:2
	s_waitcnt lgkmcnt(0)
	v_perm_b32 v18, v20, v18, s65
	s_or_b64 exec, exec, s[2:3]
	v_cmp_gt_u32_e32 vcc, s71, v50
	s_and_saveexec_b64 s[2:3], vcc
	s_cbranch_execnz .LBB24_137
.LBB24_142:                             ;   in Loop: Header=BB24_15 Depth=1
	s_or_b64 exec, exec, s[2:3]
	v_cmp_gt_u32_e32 vcc, s71, v25
	s_and_saveexec_b64 s[2:3], vcc
	s_cbranch_execz .LBB24_144
.LBB24_143:                             ;   in Loop: Header=BB24_15 Depth=1
	ds_read_u16 v20, v76
	s_waitcnt lgkmcnt(0)
	v_perm_b32 v19, v20, v19, s65
.LBB24_144:                             ;   in Loop: Header=BB24_15 Depth=1
	s_or_b64 exec, exec, s[2:3]
.LBB24_145:                             ;   in Loop: Header=BB24_15 Depth=1
	s_or_b64 exec, exec, s[0:1]
	v_mov_b32_e32 v35, v34
	v_cmp_gt_u32_e32 vcc, s70, v49
	v_mov_b64_e32 v[20:21], v[34:35]
	s_and_saveexec_b64 s[0:1], vcc
	s_cbranch_execz .LBB24_149
; %bb.146:                              ;   in Loop: Header=BB24_15 Depth=1
	ds_read_u16 v20, v52
	v_mov_b32_e32 v21, v34
	s_waitcnt lgkmcnt(0)
	v_and_b32_e32 v20, 0xffff, v20
	s_or_b64 exec, exec, s[0:1]
	v_cmp_gt_u32_e64 s[0:1], s71, v51
	s_and_saveexec_b64 s[2:3], s[0:1]
	s_cbranch_execnz .LBB24_150
.LBB24_147:                             ;   in Loop: Header=BB24_15 Depth=1
	s_or_b64 exec, exec, s[2:3]
	v_cmp_gt_u32_e64 s[2:3], s71, v50
	s_and_saveexec_b64 s[26:27], s[2:3]
	s_cbranch_execz .LBB24_151
.LBB24_148:                             ;   in Loop: Header=BB24_15 Depth=1
	ds_read_u16 v35, v52 offset:4
	s_waitcnt lgkmcnt(0)
	v_bfi_b32 v21, s67, v35, v21
	s_or_b64 exec, exec, s[26:27]
	v_cmp_gt_u32_e64 s[26:27], s71, v25
	s_and_saveexec_b64 s[56:57], s[26:27]
	s_cbranch_execnz .LBB24_152
	s_branch .LBB24_153
.LBB24_149:                             ;   in Loop: Header=BB24_15 Depth=1
	s_or_b64 exec, exec, s[0:1]
	v_cmp_gt_u32_e64 s[0:1], s71, v51
	s_and_saveexec_b64 s[2:3], s[0:1]
	s_cbranch_execz .LBB24_147
.LBB24_150:                             ;   in Loop: Header=BB24_15 Depth=1
	ds_read_u16 v35, v52 offset:2
	s_waitcnt lgkmcnt(0)
	v_perm_b32 v20, v35, v20, s65
	s_or_b64 exec, exec, s[2:3]
	v_cmp_gt_u32_e64 s[2:3], s71, v50
	s_and_saveexec_b64 s[26:27], s[2:3]
	s_cbranch_execnz .LBB24_148
.LBB24_151:                             ;   in Loop: Header=BB24_15 Depth=1
	s_or_b64 exec, exec, s[26:27]
	v_cmp_gt_u32_e64 s[26:27], s71, v25
	s_and_saveexec_b64 s[56:57], s[26:27]
	s_cbranch_execz .LBB24_153
.LBB24_152:                             ;   in Loop: Header=BB24_15 Depth=1
	ds_read_u16 v35, v53
	s_waitcnt lgkmcnt(0)
	v_perm_b32 v21, v35, v21, s65
.LBB24_153:                             ;   in Loop: Header=BB24_15 Depth=1
	s_or_b64 exec, exec, s[56:57]
	v_mov_b32_e32 v35, v34
	v_mov_b64_e32 v[40:41], v[34:35]
	s_and_saveexec_b64 s[56:57], vcc
	s_cbranch_execz .LBB24_157
; %bb.154:                              ;   in Loop: Header=BB24_15 Depth=1
	ds_read_u16 v35, v52 offset:512
	v_mov_b32_e32 v41, v34
	s_waitcnt lgkmcnt(0)
	v_and_b32_e32 v40, 0xffff, v35
	s_or_b64 exec, exec, s[56:57]
	s_and_saveexec_b64 s[56:57], s[0:1]
	s_cbranch_execnz .LBB24_158
.LBB24_155:                             ;   in Loop: Header=BB24_15 Depth=1
	s_or_b64 exec, exec, s[56:57]
	s_and_saveexec_b64 s[56:57], s[2:3]
	s_cbranch_execz .LBB24_159
.LBB24_156:                             ;   in Loop: Header=BB24_15 Depth=1
	ds_read_u16 v35, v52 offset:516
	s_waitcnt lgkmcnt(0)
	v_bfi_b32 v41, s67, v35, v41
	s_or_b64 exec, exec, s[56:57]
	s_and_saveexec_b64 s[56:57], s[26:27]
	s_cbranch_execnz .LBB24_160
	s_branch .LBB24_161
.LBB24_157:                             ;   in Loop: Header=BB24_15 Depth=1
	s_or_b64 exec, exec, s[56:57]
	s_and_saveexec_b64 s[56:57], s[0:1]
	s_cbranch_execz .LBB24_155
.LBB24_158:                             ;   in Loop: Header=BB24_15 Depth=1
	ds_read_u16 v35, v52 offset:514
	s_waitcnt lgkmcnt(0)
	v_perm_b32 v40, v35, v40, s65
	s_or_b64 exec, exec, s[56:57]
	s_and_saveexec_b64 s[56:57], s[2:3]
	s_cbranch_execnz .LBB24_156
.LBB24_159:                             ;   in Loop: Header=BB24_15 Depth=1
	s_or_b64 exec, exec, s[56:57]
	s_and_saveexec_b64 s[56:57], s[26:27]
	s_cbranch_execz .LBB24_161
.LBB24_160:                             ;   in Loop: Header=BB24_15 Depth=1
	ds_read_u16 v35, v53 offset:512
	s_waitcnt lgkmcnt(0)
	v_perm_b32 v41, v35, v41, s65
.LBB24_161:                             ;   in Loop: Header=BB24_15 Depth=1
	s_or_b64 exec, exec, s[56:57]
	v_mov_b32_e32 v35, v34
	v_mov_b64_e32 v[42:43], v[34:35]
	s_and_saveexec_b64 s[56:57], vcc
	s_cbranch_execz .LBB24_165
; %bb.162:                              ;   in Loop: Header=BB24_15 Depth=1
	ds_read_u16 v35, v52 offset:1024
	v_mov_b32_e32 v43, v34
	s_waitcnt lgkmcnt(0)
	v_and_b32_e32 v42, 0xffff, v35
	s_or_b64 exec, exec, s[56:57]
	s_and_saveexec_b64 s[56:57], s[0:1]
	s_cbranch_execnz .LBB24_166
.LBB24_163:                             ;   in Loop: Header=BB24_15 Depth=1
	s_or_b64 exec, exec, s[56:57]
	s_and_saveexec_b64 s[56:57], s[2:3]
	s_cbranch_execz .LBB24_167
.LBB24_164:                             ;   in Loop: Header=BB24_15 Depth=1
	ds_read_u16 v35, v52 offset:1028
	s_waitcnt lgkmcnt(0)
	v_bfi_b32 v43, s67, v35, v43
	s_or_b64 exec, exec, s[56:57]
	s_and_saveexec_b64 s[56:57], s[26:27]
	s_cbranch_execnz .LBB24_168
	s_branch .LBB24_169
.LBB24_165:                             ;   in Loop: Header=BB24_15 Depth=1
	s_or_b64 exec, exec, s[56:57]
	s_and_saveexec_b64 s[56:57], s[0:1]
	s_cbranch_execz .LBB24_163
.LBB24_166:                             ;   in Loop: Header=BB24_15 Depth=1
	ds_read_u16 v35, v52 offset:1026
	s_waitcnt lgkmcnt(0)
	v_perm_b32 v42, v35, v42, s65
	s_or_b64 exec, exec, s[56:57]
	s_and_saveexec_b64 s[56:57], s[2:3]
	s_cbranch_execnz .LBB24_164
.LBB24_167:                             ;   in Loop: Header=BB24_15 Depth=1
	s_or_b64 exec, exec, s[56:57]
	s_and_saveexec_b64 s[56:57], s[26:27]
	s_cbranch_execz .LBB24_169
.LBB24_168:                             ;   in Loop: Header=BB24_15 Depth=1
	ds_read_u16 v35, v53 offset:1024
	s_waitcnt lgkmcnt(0)
	v_perm_b32 v43, v35, v43, s65
.LBB24_169:                             ;   in Loop: Header=BB24_15 Depth=1
	s_or_b64 exec, exec, s[56:57]
	v_mov_b32_e32 v35, v34
	v_mov_b64_e32 v[44:45], v[34:35]
	s_and_saveexec_b64 s[56:57], vcc
	s_cbranch_execz .LBB24_173
; %bb.170:                              ;   in Loop: Header=BB24_15 Depth=1
	ds_read_u16 v35, v54
	v_mov_b32_e32 v45, v34
	s_waitcnt lgkmcnt(0)
	v_and_b32_e32 v44, 0xffff, v35
	s_or_b64 exec, exec, s[56:57]
	s_and_saveexec_b64 s[56:57], s[0:1]
	s_cbranch_execnz .LBB24_174
.LBB24_171:                             ;   in Loop: Header=BB24_15 Depth=1
	s_or_b64 exec, exec, s[56:57]
	s_and_saveexec_b64 s[0:1], s[2:3]
	s_cbranch_execz .LBB24_175
.LBB24_172:                             ;   in Loop: Header=BB24_15 Depth=1
	ds_read_u16 v35, v54 offset:4
	s_waitcnt lgkmcnt(0)
	v_bfi_b32 v45, s67, v35, v45
	s_or_b64 exec, exec, s[0:1]
	s_and_saveexec_b64 s[0:1], s[26:27]
	s_cbranch_execz .LBB24_14
	s_branch .LBB24_176
.LBB24_173:                             ;   in Loop: Header=BB24_15 Depth=1
	s_or_b64 exec, exec, s[56:57]
	s_and_saveexec_b64 s[56:57], s[0:1]
	s_cbranch_execz .LBB24_171
.LBB24_174:                             ;   in Loop: Header=BB24_15 Depth=1
	ds_read_u16 v35, v54 offset:2
	s_waitcnt lgkmcnt(0)
	v_perm_b32 v44, v35, v44, s65
	s_or_b64 exec, exec, s[56:57]
	s_and_saveexec_b64 s[0:1], s[2:3]
	s_cbranch_execnz .LBB24_172
.LBB24_175:                             ;   in Loop: Header=BB24_15 Depth=1
	s_or_b64 exec, exec, s[0:1]
	s_and_saveexec_b64 s[0:1], s[26:27]
	s_cbranch_execz .LBB24_14
.LBB24_176:                             ;   in Loop: Header=BB24_15 Depth=1
	ds_read_u16 v35, v55
	s_waitcnt lgkmcnt(0)
	v_perm_b32 v45, v35, v45, s65
	s_branch .LBB24_14
.LBB24_177:
	v_mov_b32_e32 v14, 0
	v_mov_b32_e32 v15, v14
	;; [unrolled: 1-line block ×4, first 2 shown]
	v_mov_b64_e32 v[2:3], v[14:15]
	v_mov_b64_e32 v[6:7], v[14:15]
	v_mov_b64_e32 v[10:11], v[14:15]
	v_mov_b64_e32 v[4:5], v[16:17]
	v_mov_b64_e32 v[8:9], v[16:17]
	v_mov_b64_e32 v[12:13], v[16:17]
.LBB24_178:
	s_lshl_b64 s[0:1], s[42:43], 6
	s_cmp_lg_u64 s[36:37], 0
	s_cbranch_scc0 .LBB24_220
; %bb.179:
	v_cmp_eq_u32_e32 vcc, 0, v48
	s_and_saveexec_b64 s[2:3], vcc
	s_cbranch_execz .LBB24_217
; %bb.180:
	v_cmp_le_u32_e32 vcc, s41, v49
	s_and_saveexec_b64 s[4:5], vcc
	s_xor_b64 s[4:5], exec, s[4:5]
; %bb.181:
	v_mov_b32_e32 v1, 1.0
	ds_write_b32 v24, v1 offset:4928
; %bb.182:
	s_andn2_saveexec_b64 s[4:5], s[4:5]
	s_cbranch_execz .LBB24_188
; %bb.183:
	v_add_u32_e32 v18, s34, v49
	v_ashrrev_i32_e32 v19, 31, v18
	v_lshl_add_u64 v[18:19], v[18:19], 1, s[36:37]
	global_load_ushort v1, v[18:19], off
	s_movk_i32 s6, 0x1f8
	s_waitcnt vmcnt(0)
	v_lshlrev_b32_e32 v1, 16, v1
	v_cmp_class_f32_e64 s[6:7], v1, s6
	s_and_saveexec_b64 s[8:9], s[6:7]
	s_xor_b64 s[6:7], exec, s[8:9]
	s_cbranch_execz .LBB24_185
; %bb.184:
	v_add_u32_e32 v20, 0x1000, v24
	ds_read2_b32 v[18:19], v20 offset0:144 offset1:160
	v_max_f32_e32 v21, v1, v1
	s_mov_b32 s8, 0xff800000
	s_waitcnt lgkmcnt(0)
	v_max_f32_e32 v23, v19, v19
	v_max_f32_e32 v21, v23, v21
	v_sub_f32_e32 v23, v19, v21
	v_sub_f32_e32 v1, v1, v21
	v_mul_f32_e32 v23, 0x3fb8aa3b, v23
	v_exp_f32_e32 v23, v23
	v_mul_f32_e32 v1, 0x3fb8aa3b, v1
	v_exp_f32_e32 v1, v1
	v_cmp_neq_f32_e32 vcc, s8, v19
	s_nop 1
	v_cndmask_b32_e32 v19, 0, v23, vcc
	v_mul_f32_e32 v23, v18, v19
	v_fmac_f32_e32 v1, v18, v19
	v_div_scale_f32 v18, s[8:9], v1, v1, v23
	v_rcp_f32_e32 v19, v18
	v_div_scale_f32 v26, vcc, v23, v1, v23
	v_fma_f32 v27, -v18, v19, 1.0
	v_fmac_f32_e32 v19, v27, v19
	v_mul_f32_e32 v27, v26, v19
	v_fma_f32 v28, -v18, v27, v26
	v_fmac_f32_e32 v27, v28, v19
	v_fma_f32 v18, -v18, v27, v26
	v_div_fmas_f32 v18, v18, v19, v27
	v_div_fixup_f32 v18, v18, v1, v23
	v_cmp_lt_f32_e32 vcc, 0, v1
	s_nop 1
	v_cndmask_b32_e32 v18, 1.0, v18, vcc
	ds_write_b32 v24, v18 offset:4928
	ds_write2_b32 v20, v1, v21 offset0:144 offset1:160
.LBB24_185:
	s_andn2_saveexec_b64 s[6:7], s[6:7]
; %bb.186:
	v_mov_b32_e32 v1, 1.0
	ds_write_b32 v24, v1 offset:4928
; %bb.187:
	s_or_b64 exec, exec, s[6:7]
.LBB24_188:
	s_or_b64 exec, exec, s[4:5]
	v_or_b32_e32 v1, 1, v22
	v_cmp_le_u32_e32 vcc, s33, v1
	s_and_saveexec_b64 s[4:5], vcc
	s_xor_b64 s[4:5], exec, s[4:5]
	s_cbranch_execz .LBB24_192
; %bb.189:
	v_cmp_gt_u32_e32 vcc, 64, v0
	s_and_saveexec_b64 s[6:7], vcc
; %bb.190:
	v_lshlrev_b32_e32 v1, 2, v22
	v_mov_b32_e32 v18, 1.0
	ds_write_b32 v1, v18 offset:4932
; %bb.191:
	s_or_b64 exec, exec, s[6:7]
.LBB24_192:
	s_andn2_saveexec_b64 s[4:5], s[4:5]
	s_cbranch_execz .LBB24_198
; %bb.193:
	s_ashr_i32 s35, s34, 31
	v_mov_b32_e32 v23, 0
	v_lshl_add_u64 v[18:19], v[22:23], 0, s[34:35]
	v_lshl_add_u64 v[18:19], v[18:19], 1, s[36:37]
	global_load_ushort v1, v[18:19], off offset:2
	s_movk_i32 s6, 0x1f8
	s_waitcnt vmcnt(0)
	v_lshlrev_b32_e32 v1, 16, v1
	v_cmp_class_f32_e64 s[6:7], v1, s6
	s_and_saveexec_b64 s[8:9], s[6:7]
	s_xor_b64 s[6:7], exec, s[8:9]
	s_cbranch_execz .LBB24_195
; %bb.194:
	v_lshlrev_b32_e32 v20, 2, v22
	v_add_u32_e32 v21, 0x1000, v20
	ds_read2_b32 v[18:19], v21 offset0:145 offset1:161
	v_max_f32_e32 v23, v1, v1
	s_mov_b32 s8, 0xff800000
	s_waitcnt lgkmcnt(0)
	v_max_f32_e32 v26, v19, v19
	v_max_f32_e32 v23, v26, v23
	v_sub_f32_e32 v26, v19, v23
	v_sub_f32_e32 v1, v1, v23
	v_mul_f32_e32 v26, 0x3fb8aa3b, v26
	v_exp_f32_e32 v26, v26
	v_mul_f32_e32 v1, 0x3fb8aa3b, v1
	v_exp_f32_e32 v1, v1
	v_cmp_neq_f32_e32 vcc, s8, v19
	s_nop 1
	v_cndmask_b32_e32 v19, 0, v26, vcc
	v_mul_f32_e32 v26, v18, v19
	v_fmac_f32_e32 v1, v18, v19
	v_div_scale_f32 v18, s[8:9], v1, v1, v26
	v_rcp_f32_e32 v19, v18
	v_div_scale_f32 v27, vcc, v26, v1, v26
	v_fma_f32 v28, -v18, v19, 1.0
	v_fmac_f32_e32 v19, v28, v19
	v_mul_f32_e32 v28, v27, v19
	v_fma_f32 v29, -v18, v28, v27
	v_fmac_f32_e32 v28, v29, v19
	v_fma_f32 v18, -v18, v28, v27
	v_div_fmas_f32 v18, v18, v19, v28
	v_div_fixup_f32 v18, v18, v1, v26
	v_cmp_lt_f32_e32 vcc, 0, v1
	s_nop 1
	v_cndmask_b32_e32 v18, 1.0, v18, vcc
	ds_write_b32 v20, v18 offset:4932
	ds_write2_b32 v21, v1, v23 offset0:145 offset1:161
.LBB24_195:
	s_andn2_saveexec_b64 s[6:7], s[6:7]
; %bb.196:
	v_lshlrev_b32_e32 v1, 2, v22
	v_mov_b32_e32 v18, 1.0
	ds_write_b32 v1, v18 offset:4932
; %bb.197:
	s_or_b64 exec, exec, s[6:7]
.LBB24_198:
	s_or_b64 exec, exec, s[4:5]
	v_or_b32_e32 v1, 2, v22
	v_cmp_le_u32_e32 vcc, s33, v1
	s_and_saveexec_b64 s[4:5], vcc
	s_xor_b64 s[4:5], exec, s[4:5]
	s_cbranch_execz .LBB24_202
; %bb.199:
	v_cmp_gt_u32_e32 vcc, 64, v0
	s_and_saveexec_b64 s[6:7], vcc
; %bb.200:
	v_lshlrev_b32_e32 v1, 2, v22
	v_mov_b32_e32 v18, 1.0
	ds_write_b32 v1, v18 offset:4936
; %bb.201:
	s_or_b64 exec, exec, s[6:7]
.LBB24_202:
	s_andn2_saveexec_b64 s[4:5], s[4:5]
	s_cbranch_execz .LBB24_208
; %bb.203:
	s_ashr_i32 s35, s34, 31
	v_mov_b32_e32 v23, 0
	v_lshl_add_u64 v[18:19], v[22:23], 0, s[34:35]
	v_lshl_add_u64 v[18:19], v[18:19], 1, s[36:37]
	global_load_ushort v1, v[18:19], off offset:4
	s_movk_i32 s6, 0x1f8
	s_waitcnt vmcnt(0)
	v_lshlrev_b32_e32 v1, 16, v1
	v_cmp_class_f32_e64 s[6:7], v1, s6
	s_and_saveexec_b64 s[8:9], s[6:7]
	s_xor_b64 s[6:7], exec, s[8:9]
	s_cbranch_execz .LBB24_205
; %bb.204:
	v_lshlrev_b32_e32 v20, 2, v22
	v_add_u32_e32 v21, 0x1000, v20
	ds_read2_b32 v[18:19], v21 offset0:146 offset1:162
	v_max_f32_e32 v23, v1, v1
	s_mov_b32 s8, 0xff800000
	s_waitcnt lgkmcnt(0)
	v_max_f32_e32 v26, v19, v19
	v_max_f32_e32 v23, v26, v23
	v_sub_f32_e32 v26, v19, v23
	v_sub_f32_e32 v1, v1, v23
	v_mul_f32_e32 v26, 0x3fb8aa3b, v26
	v_exp_f32_e32 v26, v26
	v_mul_f32_e32 v1, 0x3fb8aa3b, v1
	v_exp_f32_e32 v1, v1
	v_cmp_neq_f32_e32 vcc, s8, v19
	s_nop 1
	v_cndmask_b32_e32 v19, 0, v26, vcc
	v_mul_f32_e32 v26, v18, v19
	v_fmac_f32_e32 v1, v18, v19
	v_div_scale_f32 v18, s[8:9], v1, v1, v26
	v_rcp_f32_e32 v19, v18
	v_div_scale_f32 v27, vcc, v26, v1, v26
	v_fma_f32 v28, -v18, v19, 1.0
	v_fmac_f32_e32 v19, v28, v19
	v_mul_f32_e32 v28, v27, v19
	v_fma_f32 v29, -v18, v28, v27
	v_fmac_f32_e32 v28, v29, v19
	v_fma_f32 v18, -v18, v28, v27
	v_div_fmas_f32 v18, v18, v19, v28
	v_div_fixup_f32 v18, v18, v1, v26
	v_cmp_lt_f32_e32 vcc, 0, v1
	s_nop 1
	v_cndmask_b32_e32 v18, 1.0, v18, vcc
	ds_write_b32 v20, v18 offset:4936
	ds_write2_b32 v21, v1, v23 offset0:146 offset1:162
.LBB24_205:
	s_andn2_saveexec_b64 s[6:7], s[6:7]
; %bb.206:
	v_lshlrev_b32_e32 v1, 2, v22
	v_mov_b32_e32 v18, 1.0
	ds_write_b32 v1, v18 offset:4936
; %bb.207:
	s_or_b64 exec, exec, s[6:7]
.LBB24_208:
	s_or_b64 exec, exec, s[4:5]
	v_cmp_le_u32_e32 vcc, s33, v25
	s_and_saveexec_b64 s[4:5], vcc
	s_xor_b64 s[4:5], exec, s[4:5]
	s_cbranch_execz .LBB24_212
; %bb.209:
	v_cmp_gt_u32_e32 vcc, 64, v0
	s_and_saveexec_b64 s[6:7], vcc
; %bb.210:
	v_lshlrev_b32_e32 v1, 2, v22
	v_mov_b32_e32 v18, 1.0
	ds_write_b32 v1, v18 offset:4940
; %bb.211:
	s_or_b64 exec, exec, s[6:7]
.LBB24_212:
	s_andn2_saveexec_b64 s[4:5], s[4:5]
	s_cbranch_execz .LBB24_217
; %bb.213:
	s_ashr_i32 s35, s34, 31
	v_mov_b32_e32 v23, 0
	v_lshl_add_u64 v[18:19], v[22:23], 0, s[34:35]
	v_lshl_add_u64 v[18:19], v[18:19], 1, s[36:37]
	global_load_ushort v1, v[18:19], off offset:6
	s_movk_i32 s4, 0x1f8
	s_waitcnt vmcnt(0)
	v_lshlrev_b32_e32 v18, 16, v1
	v_cmp_class_f32_e64 s[4:5], v18, s4
	v_lshlrev_b32_e32 v1, 2, v22
	s_and_saveexec_b64 s[6:7], s[4:5]
	s_xor_b64 s[4:5], exec, s[6:7]
	s_cbranch_execz .LBB24_215
; %bb.214:
	v_add_u32_e32 v19, 0x1000, v1
	ds_read2_b32 v[20:21], v19 offset0:147 offset1:163
	v_max_f32_e32 v23, v18, v18
	s_mov_b32 s6, 0xff800000
	s_waitcnt lgkmcnt(0)
	v_max_f32_e32 v26, v21, v21
	v_max_f32_e32 v23, v26, v23
	v_sub_f32_e32 v26, v21, v23
	v_sub_f32_e32 v18, v18, v23
	v_mul_f32_e32 v26, 0x3fb8aa3b, v26
	v_exp_f32_e32 v26, v26
	v_mul_f32_e32 v18, 0x3fb8aa3b, v18
	v_exp_f32_e32 v18, v18
	v_cmp_neq_f32_e32 vcc, s6, v21
	s_nop 1
	v_cndmask_b32_e32 v21, 0, v26, vcc
	v_mul_f32_e32 v26, v20, v21
	v_fmac_f32_e32 v18, v20, v21
	v_div_scale_f32 v20, s[6:7], v18, v18, v26
	v_rcp_f32_e32 v21, v20
	v_div_scale_f32 v27, vcc, v26, v18, v26
	v_fma_f32 v28, -v20, v21, 1.0
	v_fmac_f32_e32 v21, v28, v21
	v_mul_f32_e32 v28, v27, v21
	v_fma_f32 v29, -v20, v28, v27
	v_fmac_f32_e32 v28, v29, v21
	v_fma_f32 v20, -v20, v28, v27
	v_div_fmas_f32 v20, v20, v21, v28
	v_div_fixup_f32 v20, v20, v18, v26
	v_cmp_lt_f32_e32 vcc, 0, v18
	s_nop 1
	v_cndmask_b32_e32 v20, 1.0, v20, vcc
	ds_write_b32 v1, v20 offset:4940
	ds_write2_b32 v19, v18, v23 offset0:147 offset1:163
                                        ; implicit-def: $vgpr1
.LBB24_215:
	s_andn2_saveexec_b64 s[4:5], s[4:5]
; %bb.216:
	v_mov_b32_e32 v18, 1.0
	ds_write_b32 v1, v18 offset:4940
.LBB24_217:
	s_or_b64 exec, exec, s[2:3]
	s_waitcnt lgkmcnt(0)
	s_barrier
	ds_read_b96 v[18:20], v24 offset:4928
	v_cmp_gt_u32_e32 vcc, 64, v0
	v_mov_b32_e32 v1, 1.0
	s_and_saveexec_b64 s[2:3], vcc
; %bb.218:
	v_lshl_or_b32 v1, v22, 2, 12
	ds_read_b32 v1, v1 offset:4928
; %bb.219:
	s_or_b64 exec, exec, s[2:3]
	s_waitcnt lgkmcnt(0)
	v_pk_mul_f32 v[10:11], v[10:11], v[18:19]
	v_pk_mul_f32 v[14:15], v[14:15], v[18:19]
	;; [unrolled: 1-line block ×4, first 2 shown]
	v_mul_f32_e32 v16, v16, v20
	v_mul_f32_e32 v4, v4, v20
	;; [unrolled: 1-line block ×8, first 2 shown]
.LBB24_220:
	s_lshl_b64 s[0:1], s[0:1], 2
	s_add_u32 s0, s38, s0
	v_or_b32_e32 v18, 48, v0
	s_addc_u32 s1, s39, s1
	v_mov_b32_e32 v1, 0
	v_cmp_gt_u32_e32 vcc, s41, v49
	v_lshlrev_b32_e32 v0, 2, v48
	v_lshlrev_b32_e32 v18, 2, v18
	s_and_saveexec_b64 s[2:3], vcc
	s_cbranch_execz .LBB24_224
; %bb.221:
	v_add_u32_e32 v20, s34, v49
	v_ashrrev_i32_e32 v21, 31, v20
	v_lshlrev_b64 v[20:21], 8, v[20:21]
	v_lshl_add_u64 v[20:21], s[0:1], 0, v[20:21]
	v_mov_b32_e32 v19, v1
	v_lshl_add_u64 v[22:23], v[20:21], 0, v[0:1]
	v_lshl_add_u64 v[20:21], v[20:21], 0, v[18:19]
	global_store_dword v[22:23], v14, off
	global_store_dword v[22:23], v2, off offset:64
	global_store_dword v[22:23], v6, off offset:128
	global_store_dword v[20:21], v10, off
	s_or_b64 exec, exec, s[2:3]
	v_cmp_gt_u32_e32 vcc, s33, v51
	s_and_saveexec_b64 s[2:3], vcc
	s_cbranch_execnz .LBB24_225
.LBB24_222:
	s_or_b64 exec, exec, s[2:3]
	v_cmp_gt_u32_e32 vcc, s33, v50
	s_and_saveexec_b64 s[2:3], vcc
	s_cbranch_execz .LBB24_226
.LBB24_223:
	v_add_u32_e32 v2, s34, v50
	v_ashrrev_i32_e32 v3, 31, v2
	v_lshlrev_b64 v[2:3], 8, v[2:3]
	v_mov_b32_e32 v1, 0
	v_lshl_add_u64 v[2:3], s[0:1], 0, v[2:3]
	v_mov_b32_e32 v19, v1
	v_lshl_add_u64 v[6:7], v[2:3], 0, v[0:1]
	v_lshl_add_u64 v[2:3], v[2:3], 0, v[18:19]
	global_store_dword v[6:7], v16, off
	global_store_dword v[6:7], v4, off offset:64
	global_store_dword v[6:7], v8, off offset:128
	global_store_dword v[2:3], v12, off
	s_or_b64 exec, exec, s[2:3]
	v_cmp_gt_u32_e32 vcc, s33, v25
	s_and_b64 exec, exec, vcc
	s_cbranch_execnz .LBB24_227
	s_branch .LBB24_228
.LBB24_224:
	s_or_b64 exec, exec, s[2:3]
	v_cmp_gt_u32_e32 vcc, s33, v51
	s_and_saveexec_b64 s[2:3], vcc
	s_cbranch_execz .LBB24_222
.LBB24_225:
	v_add_u32_e32 v20, s34, v51
	v_ashrrev_i32_e32 v21, 31, v20
	v_lshlrev_b64 v[20:21], 8, v[20:21]
	v_lshl_add_u64 v[20:21], s[0:1], 0, v[20:21]
	v_mov_b32_e32 v1, 0
	v_lshl_add_u64 v[22:23], v[20:21], 0, v[0:1]
	v_mov_b32_e32 v19, v1
	global_store_dword v[22:23], v15, off
	global_store_dword v[22:23], v3, off offset:64
	global_store_dword v[22:23], v7, off offset:128
	v_lshl_add_u64 v[2:3], v[20:21], 0, v[18:19]
	global_store_dword v[2:3], v11, off
	s_or_b64 exec, exec, s[2:3]
	v_cmp_gt_u32_e32 vcc, s33, v50
	s_and_saveexec_b64 s[2:3], vcc
	s_cbranch_execnz .LBB24_223
.LBB24_226:
	s_or_b64 exec, exec, s[2:3]
	v_cmp_gt_u32_e32 vcc, s33, v25
	s_and_b64 exec, exec, vcc
	s_cbranch_execz .LBB24_228
.LBB24_227:
	v_add_u32_e32 v2, s34, v25
	v_ashrrev_i32_e32 v3, 31, v2
	v_lshlrev_b64 v[2:3], 8, v[2:3]
	v_mov_b32_e32 v1, 0
	v_lshl_add_u64 v[2:3], s[0:1], 0, v[2:3]
	v_mov_b32_e32 v19, v1
	v_lshl_add_u64 v[6:7], v[2:3], 0, v[0:1]
	v_lshl_add_u64 v[0:1], v[2:3], 0, v[18:19]
	global_store_dword v[6:7], v17, off
	global_store_dword v[6:7], v5, off offset:64
	global_store_dword v[6:7], v9, off offset:128
	global_store_dword v[0:1], v13, off
.LBB24_228:
	s_endpgm
	.section	.rodata,"a",@progbits
	.p2align	6, 0x0
	.amdhsa_kernel _Z22fa2_decode_mfma_head64IfLb1ELi16ELi16EEvPKfPKvS3_S1_PK14__hip_bfloat16PfiiiiiiiiPKiS9_xPKxS9_S9_i
		.amdhsa_group_segment_fixed_size 4992
		.amdhsa_private_segment_fixed_size 0
		.amdhsa_kernarg_size 132
		.amdhsa_user_sgpr_count 2
		.amdhsa_user_sgpr_dispatch_ptr 0
		.amdhsa_user_sgpr_queue_ptr 0
		.amdhsa_user_sgpr_kernarg_segment_ptr 1
		.amdhsa_user_sgpr_dispatch_id 0
		.amdhsa_user_sgpr_kernarg_preload_length 0
		.amdhsa_user_sgpr_kernarg_preload_offset 0
		.amdhsa_user_sgpr_private_segment_size 0
		.amdhsa_uses_dynamic_stack 0
		.amdhsa_enable_private_segment 0
		.amdhsa_system_sgpr_workgroup_id_x 1
		.amdhsa_system_sgpr_workgroup_id_y 1
		.amdhsa_system_sgpr_workgroup_id_z 0
		.amdhsa_system_sgpr_workgroup_info 0
		.amdhsa_system_vgpr_workitem_id 0
		.amdhsa_next_free_vgpr 96
		.amdhsa_next_free_sgpr 76
		.amdhsa_accum_offset 96
		.amdhsa_reserve_vcc 1
		.amdhsa_float_round_mode_32 0
		.amdhsa_float_round_mode_16_64 0
		.amdhsa_float_denorm_mode_32 3
		.amdhsa_float_denorm_mode_16_64 3
		.amdhsa_dx10_clamp 1
		.amdhsa_ieee_mode 1
		.amdhsa_fp16_overflow 0
		.amdhsa_tg_split 0
		.amdhsa_exception_fp_ieee_invalid_op 0
		.amdhsa_exception_fp_denorm_src 0
		.amdhsa_exception_fp_ieee_div_zero 0
		.amdhsa_exception_fp_ieee_overflow 0
		.amdhsa_exception_fp_ieee_underflow 0
		.amdhsa_exception_fp_ieee_inexact 0
		.amdhsa_exception_int_div_zero 0
	.end_amdhsa_kernel
	.section	.text._Z22fa2_decode_mfma_head64IfLb1ELi16ELi16EEvPKfPKvS3_S1_PK14__hip_bfloat16PfiiiiiiiiPKiS9_xPKxS9_S9_i,"axG",@progbits,_Z22fa2_decode_mfma_head64IfLb1ELi16ELi16EEvPKfPKvS3_S1_PK14__hip_bfloat16PfiiiiiiiiPKiS9_xPKxS9_S9_i,comdat
.Lfunc_end24:
	.size	_Z22fa2_decode_mfma_head64IfLb1ELi16ELi16EEvPKfPKvS3_S1_PK14__hip_bfloat16PfiiiiiiiiPKiS9_xPKxS9_S9_i, .Lfunc_end24-_Z22fa2_decode_mfma_head64IfLb1ELi16ELi16EEvPKfPKvS3_S1_PK14__hip_bfloat16PfiiiiiiiiPKiS9_xPKxS9_S9_i
                                        ; -- End function
	.set _Z22fa2_decode_mfma_head64IfLb1ELi16ELi16EEvPKfPKvS3_S1_PK14__hip_bfloat16PfiiiiiiiiPKiS9_xPKxS9_S9_i.num_vgpr, 96
	.set _Z22fa2_decode_mfma_head64IfLb1ELi16ELi16EEvPKfPKvS3_S1_PK14__hip_bfloat16PfiiiiiiiiPKiS9_xPKxS9_S9_i.num_agpr, 0
	.set _Z22fa2_decode_mfma_head64IfLb1ELi16ELi16EEvPKfPKvS3_S1_PK14__hip_bfloat16PfiiiiiiiiPKiS9_xPKxS9_S9_i.numbered_sgpr, 76
	.set _Z22fa2_decode_mfma_head64IfLb1ELi16ELi16EEvPKfPKvS3_S1_PK14__hip_bfloat16PfiiiiiiiiPKiS9_xPKxS9_S9_i.num_named_barrier, 0
	.set _Z22fa2_decode_mfma_head64IfLb1ELi16ELi16EEvPKfPKvS3_S1_PK14__hip_bfloat16PfiiiiiiiiPKiS9_xPKxS9_S9_i.private_seg_size, 0
	.set _Z22fa2_decode_mfma_head64IfLb1ELi16ELi16EEvPKfPKvS3_S1_PK14__hip_bfloat16PfiiiiiiiiPKiS9_xPKxS9_S9_i.uses_vcc, 1
	.set _Z22fa2_decode_mfma_head64IfLb1ELi16ELi16EEvPKfPKvS3_S1_PK14__hip_bfloat16PfiiiiiiiiPKiS9_xPKxS9_S9_i.uses_flat_scratch, 0
	.set _Z22fa2_decode_mfma_head64IfLb1ELi16ELi16EEvPKfPKvS3_S1_PK14__hip_bfloat16PfiiiiiiiiPKiS9_xPKxS9_S9_i.has_dyn_sized_stack, 0
	.set _Z22fa2_decode_mfma_head64IfLb1ELi16ELi16EEvPKfPKvS3_S1_PK14__hip_bfloat16PfiiiiiiiiPKiS9_xPKxS9_S9_i.has_recursion, 0
	.set _Z22fa2_decode_mfma_head64IfLb1ELi16ELi16EEvPKfPKvS3_S1_PK14__hip_bfloat16PfiiiiiiiiPKiS9_xPKxS9_S9_i.has_indirect_call, 0
	.section	.AMDGPU.csdata,"",@progbits
; Kernel info:
; codeLenInByte = 9748
; TotalNumSgprs: 82
; NumVgprs: 96
; NumAgprs: 0
; TotalNumVgprs: 96
; ScratchSize: 0
; MemoryBound: 0
; FloatMode: 240
; IeeeMode: 1
; LDSByteSize: 4992 bytes/workgroup (compile time only)
; SGPRBlocks: 10
; VGPRBlocks: 11
; NumSGPRsForWavesPerEU: 82
; NumVGPRsForWavesPerEU: 96
; AccumOffset: 96
; Occupancy: 5
; WaveLimiterHint : 1
; COMPUTE_PGM_RSRC2:SCRATCH_EN: 0
; COMPUTE_PGM_RSRC2:USER_SGPR: 2
; COMPUTE_PGM_RSRC2:TRAP_HANDLER: 0
; COMPUTE_PGM_RSRC2:TGID_X_EN: 1
; COMPUTE_PGM_RSRC2:TGID_Y_EN: 1
; COMPUTE_PGM_RSRC2:TGID_Z_EN: 0
; COMPUTE_PGM_RSRC2:TIDIG_COMP_CNT: 0
; COMPUTE_PGM_RSRC3_GFX90A:ACCUM_OFFSET: 23
; COMPUTE_PGM_RSRC3_GFX90A:TG_SPLIT: 0
	.section	.text._Z22fa2_decode_mfma_head64IfLb0ELi16ELi16EEvPKfPKvS3_S1_PK14__hip_bfloat16PfiiiiiiiiPKiS9_xPKxS9_S9_i,"axG",@progbits,_Z22fa2_decode_mfma_head64IfLb0ELi16ELi16EEvPKfPKvS3_S1_PK14__hip_bfloat16PfiiiiiiiiPKiS9_xPKxS9_S9_i,comdat
	.protected	_Z22fa2_decode_mfma_head64IfLb0ELi16ELi16EEvPKfPKvS3_S1_PK14__hip_bfloat16PfiiiiiiiiPKiS9_xPKxS9_S9_i ; -- Begin function _Z22fa2_decode_mfma_head64IfLb0ELi16ELi16EEvPKfPKvS3_S1_PK14__hip_bfloat16PfiiiiiiiiPKiS9_xPKxS9_S9_i
	.globl	_Z22fa2_decode_mfma_head64IfLb0ELi16ELi16EEvPKfPKvS3_S1_PK14__hip_bfloat16PfiiiiiiiiPKiS9_xPKxS9_S9_i
	.p2align	8
	.type	_Z22fa2_decode_mfma_head64IfLb0ELi16ELi16EEvPKfPKvS3_S1_PK14__hip_bfloat16PfiiiiiiiiPKiS9_xPKxS9_S9_i,@function
_Z22fa2_decode_mfma_head64IfLb0ELi16ELi16EEvPKfPKvS3_S1_PK14__hip_bfloat16PfiiiiiiiiPKiS9_xPKxS9_S9_i: ; @_Z22fa2_decode_mfma_head64IfLb0ELi16ELi16EEvPKfPKvS3_S1_PK14__hip_bfloat16PfiiiiiiiiPKiS9_xPKxS9_S9_i
; %bb.0:
	s_mov_b32 s14, s3
	s_load_dword s3, s[0:1], 0x30
	s_load_dwordx2 s[48:49], s[0:1], 0x3c
	v_cmp_gt_u32_e32 vcc, 64, v0
	s_waitcnt lgkmcnt(0)
	s_cmp_lt_i32 s14, s3
	s_cselect_b64 s[4:5], -1, 0
	s_and_b64 s[4:5], vcc, s[4:5]
	s_cmp_gt_i32 s49, 0
	s_cselect_b64 s[6:7], -1, 0
	s_and_b64 s[4:5], s[4:5], s[6:7]
	s_and_saveexec_b64 s[6:7], s[4:5]
	s_cbranch_execz .LBB25_204
; %bb.1:
	s_load_dwordx2 s[16:17], s[0:1], 0x48
	s_mul_i32 s42, s49, s2
	s_waitcnt lgkmcnt(0)
	s_cmp_ge_i32 s42, s17
	s_cbranch_scc1 .LBB25_204
; %bb.2:
	s_load_dwordx4 s[8:11], s[0:1], 0x50
	s_load_dwordx2 s[6:7], s[0:1], 0x78
	s_load_dwordx4 s[20:23], s[0:1], 0x68
	s_load_dwordx2 s[18:19], s[0:1], 0x0
	s_ashr_i32 s15, s14, 31
	s_lshl_b64 s[24:25], s[14:15], 2
	s_waitcnt lgkmcnt(0)
	s_add_u32 s4, s8, s24
	s_addc_u32 s5, s9, s25
	s_ashr_i32 s9, s16, 31
	s_mov_b32 s8, s16
	s_lshl_b64 s[12:13], s[8:9], 2
	s_add_u32 s6, s6, s12
	s_addc_u32 s7, s7, s13
	s_lshl_b64 s[8:9], s[8:9], 3
	s_add_u32 s8, s20, s8
	s_addc_u32 s9, s21, s9
	s_add_u32 s12, s22, s12
	s_addc_u32 s13, s23, s13
	;; [unrolled: 2-line block ×3, first 2 shown]
	v_cmp_gt_u32_e64 s[40:41], 16, v0
	v_lshlrev_b32_e32 v2, 2, v0
	s_and_saveexec_b64 s[20:21], s[40:41]
; %bb.3:
	v_mov_b32_e32 v1, 0xff800000
	v_mov_b32_e32 v3, 0
	v_add_u32_e32 v4, 0x1000, v2
	ds_write2_b32 v4, v3, v1 offset0:144 offset1:160
; %bb.4:
	s_or_b64 exec, exec, s[20:21]
	s_mul_hi_i32 s51, s14, s17
	s_mul_i32 s50, s14, s17
	v_and_b32_e32 v46, 15, v0
	s_lshl_b64 s[14:15], s[50:51], 8
	v_rsq_f32_e32 v4, 0x42800000
	v_add_u32_e32 v6, s42, v46
	s_add_u32 s14, s18, s14
	v_ashrrev_i32_e32 v7, 31, v6
	v_lshrrev_b32_e32 v22, 2, v0
	s_addc_u32 s15, s19, s15
	v_lshlrev_b64 v[6:7], 8, v[6:7]
	v_and_b32_e32 v47, 12, v22
	v_cmp_gt_u32_e64 s[38:39], s49, v46
	v_lshl_add_u64 v[6:7], s[14:15], 0, v[6:7]
	v_mov_b32_e32 v26, 0
	v_lshlrev_b32_e32 v24, 2, v47
	v_mov_b32_e32 v28, 0
	v_mov_b32_e32 v29, 0
	s_waitcnt lgkmcnt(0)
	s_barrier
	s_and_saveexec_b64 s[14:15], s[38:39]
	s_cbranch_execz .LBB25_6
; %bb.5:
	v_mov_b32_e32 v25, 0
	v_lshl_add_u64 v[8:9], v[6:7], 0, v[24:25]
	v_lshl_or_b32 v12, v22, 2, 12
	v_mov_b32_e32 v13, v25
	global_load_dwordx3 v[8:10], v[8:9], off
	v_lshl_add_u64 v[12:13], v[6:7], 0, v[12:13]
	global_load_dword v11, v[12:13], off
	s_waitcnt vmcnt(1)
	v_pk_mul_f32 v[8:9], v[4:5], v[8:9] op_sel_hi:[0,1]
	v_cvt_pk_bf16_f32 v28, v8, v9
	s_waitcnt vmcnt(0)
	v_pk_mul_f32 v[8:9], v[4:5], v[10:11] op_sel_hi:[0,1]
	v_cvt_pk_bf16_f32 v29, v8, v9
.LBB25_6:
	s_or_b64 exec, exec, s[14:15]
	v_mov_b32_e32 v27, 0
	s_and_saveexec_b64 s[14:15], s[38:39]
	s_cbranch_execz .LBB25_8
; %bb.7:
	v_mov_b32_e32 v25, 0
	v_mov_b32_e32 v1, 0x4c
	v_lshl_add_u64 v[8:9], v[6:7], 0, v[24:25]
	v_lshl_or_b32 v12, v22, 2, v1
	v_mov_b32_e32 v13, v25
	global_load_dwordx3 v[8:10], v[8:9], off offset:64
	v_lshl_add_u64 v[12:13], v[6:7], 0, v[12:13]
	global_load_dword v11, v[12:13], off
	s_waitcnt vmcnt(1)
	v_pk_mul_f32 v[8:9], v[4:5], v[8:9] op_sel_hi:[0,1]
	v_cvt_pk_bf16_f32 v26, v8, v9
	s_waitcnt vmcnt(0)
	v_pk_mul_f32 v[8:9], v[4:5], v[10:11] op_sel_hi:[0,1]
	v_cvt_pk_bf16_f32 v27, v8, v9
.LBB25_8:
	s_or_b64 exec, exec, s[14:15]
	v_mov_b32_e32 v30, 0
	v_mov_b32_e32 v32, 0
	;; [unrolled: 1-line block ×3, first 2 shown]
	s_and_saveexec_b64 s[14:15], s[38:39]
	s_cbranch_execz .LBB25_10
; %bb.9:
	v_mov_b32_e32 v25, 0
	v_mov_b32_e32 v1, 0x8c
	v_lshl_add_u64 v[8:9], v[6:7], 0, v[24:25]
	v_lshl_or_b32 v12, v22, 2, v1
	v_mov_b32_e32 v13, v25
	global_load_dwordx3 v[8:10], v[8:9], off offset:128
	v_lshl_add_u64 v[12:13], v[6:7], 0, v[12:13]
	global_load_dword v11, v[12:13], off
	s_waitcnt vmcnt(1)
	v_pk_mul_f32 v[8:9], v[4:5], v[8:9] op_sel_hi:[0,1]
	v_cvt_pk_bf16_f32 v32, v8, v9
	s_waitcnt vmcnt(0)
	v_pk_mul_f32 v[8:9], v[4:5], v[10:11] op_sel_hi:[0,1]
	v_cvt_pk_bf16_f32 v33, v8, v9
.LBB25_10:
	s_or_b64 exec, exec, s[14:15]
	s_load_dword s43, s[4:5], 0x0
	s_load_dword s3, s[6:7], 0x0
	;; [unrolled: 1-line block ×3, first 2 shown]
	v_mov_b32_e32 v31, 0
	s_and_saveexec_b64 s[4:5], s[38:39]
	s_cbranch_execz .LBB25_12
; %bb.11:
	v_mov_b32_e32 v25, 0
	v_mov_b32_e32 v1, 0xcc
	v_lshl_add_u64 v[8:9], v[6:7], 0, v[24:25]
	v_lshl_or_b32 v12, v22, 2, v1
	v_mov_b32_e32 v13, v25
	global_load_dwordx3 v[8:10], v[8:9], off offset:192
	v_lshl_add_u64 v[6:7], v[6:7], 0, v[12:13]
	global_load_dword v7, v[6:7], off
	s_waitcnt vmcnt(1)
	v_mov_b32_e32 v6, v10
	v_pk_mul_f32 v[8:9], v[4:5], v[8:9] op_sel_hi:[0,1]
	s_waitcnt vmcnt(0)
	v_pk_mul_f32 v[4:5], v[4:5], v[6:7] op_sel_hi:[0,1]
	v_cvt_pk_bf16_f32 v30, v8, v9
	v_cvt_pk_bf16_f32 v31, v4, v5
.LBB25_12:
	s_or_b64 exec, exec, s[4:5]
	s_waitcnt lgkmcnt(0)
	s_sub_i32 s4, s43, s62
	s_max_i32 s4, s4, -1
	s_add_i32 s6, s4, 1
	s_load_dwordx4 s[44:47], s[0:1], 0x20
	s_cmp_lg_u32 s3, 0
	s_cselect_b64 s[52:53], -1, 0
	s_and_b64 s[4:5], s[52:53], exec
	s_cselect_b32 s63, s6, 0
	s_min_u32 s33, s49, 16
	s_mov_b32 s64, 0
	s_cmp_le_i32 s63, s43
	v_cmp_gt_u32_e64 s[4:5], s49, v47
	v_cmp_eq_u32_e64 s[6:7], 0, v46
	v_or_b32_e32 v49, 1, v47
	v_or_b32_e32 v48, 2, v47
	;; [unrolled: 1-line block ×3, first 2 shown]
	s_cbranch_scc0 .LBB25_156
; %bb.13:
	s_load_dword s3, s[0:1], 0x80
	s_load_dwordx4 s[12:15], s[0:1], 0x8
	s_load_dwordx2 s[16:17], s[8:9], 0x0
	s_load_dword s18, s[10:11], 0x0
	s_mul_i32 s9, s62, s48
	s_waitcnt lgkmcnt(0)
	s_add_i32 s0, s3, -1
	s_cmp_lt_u32 s0, 16
	s_cselect_b32 s65, s3, 16
	s_add_i32 s67, s62, -1
	s_add_i32 s66, s43, 1
	s_and_b32 s0, s62, s67
	s_cmp_lg_u32 s0, 0
	s_cselect_b64 s[54:55], -1, 0
	s_ashr_i32 s3, s18, 31
	s_mul_hi_i32 s8, s62, s48
	s_mul_i32 s3, s9, s3
	s_mul_hi_u32 s10, s9, s18
	s_add_i32 s3, s10, s3
	s_mul_i32 s8, s8, s18
	v_mbcnt_lo_u32_b32 v3, -1, 0
	s_ashr_i32 s1, s48, 31
	s_add_i32 s3, s3, s8
	s_mul_i32 s9, s9, s18
	v_mbcnt_hi_u32_b32 v4, -1, v3
	s_add_u32 s8, s9, s16
	v_lshlrev_b32_e32 v3, 2, v4
	s_addc_u32 s9, s3, s17
	v_and_b32_e32 v51, 0x1c0, v3
	v_mov_b32_e32 v3, 0x1000
	s_lshl_b64 s[8:9], s[8:9], 2
	v_lshl_or_b32 v7, v46, 1, v3
	v_mov_b32_e32 v3, 0x800
	s_add_u32 s10, s12, s8
	v_lshl_or_b32 v3, v46, 5, v3
	v_lshlrev_b32_e32 v9, 1, v47
	v_lshlrev_b32_e32 v10, 1, v25
	;; [unrolled: 1-line block ×3, first 2 shown]
	s_addc_u32 s11, s13, s9
	v_or_b32_e32 v52, v3, v9
	v_add_u32_e32 v53, v3, v10
	v_or_b32_e32 v3, 0x600, v11
	s_add_u32 s8, s14, s8
	v_add_u32_e32 v3, 0x800, v3
	v_mov_b32_e32 v34, 0
	s_addc_u32 s9, s15, s9
	v_or_b32_e32 v54, v3, v9
	v_add_u32_e32 v55, v3, v10
	v_mov_b32_e32 v3, v34
	v_lshl_add_u64 v[36:37], s[10:11], 0, v[2:3]
	v_lshl_add_u64 v[38:39], s[8:9], 0, v[2:3]
	v_lshlrev_b32_e32 v2, 1, v22
	v_lshlrev_b32_e32 v1, 7, v46
	v_or_b32_e32 v3, 38, v2
	v_bitop3_b32 v6, v4, 15, v4 bitop3:0xc
	v_add_u32_e32 v59, v1, v3
	v_or_b32_e32 v3, 0x46, v2
	v_or_b32_e32 v2, 0x66, v2
	;; [unrolled: 1-line block ×3, first 2 shown]
	v_add_u32_e32 v58, v1, v10
	v_add_u32_e32 v60, v1, v3
	;; [unrolled: 1-line block ×3, first 2 shown]
	v_bitop3_b32 v1, v4, 8, 15 bitop3:8
	v_cmp_gt_u32_e32 vcc, 4, v6
	v_and_b32_e32 v5, 15, v4
	v_add_lshl_u32 v62, v1, v4, 2
	v_cndmask_b32_e64 v1, 4, 0, vcc
	v_cmp_gt_u32_e32 vcc, 2, v6
	v_add_lshl_u32 v63, v1, v4, 2
	s_mov_b32 s0, s48
	v_cndmask_b32_e64 v1, 2, 0, vcc
	v_cmp_ne_u32_e32 vcc, 15, v5
	v_add_lshl_u32 v64, v1, v4, 2
	s_abs_i32 s48, s62
	v_addc_co_u32_e32 v1, vcc, 0, v4, vcc
	v_lshlrev_b32_e32 v65, 2, v1
	v_lshlrev_b32_e32 v1, 2, v25
	v_add_u32_e32 v66, 0x1200, v1
	v_add_u32_e32 v67, 0x1280, v1
	v_add_u32_e32 v68, 0x1300, v1
	v_add_u32_e32 v69, 0x1340, v1
	v_add_u32_e32 v70, 0x1240, v1
	v_cvt_f32_u32_e32 v1, s48
	s_lshl_b64 s[58:59], s[0:1], 2
	s_movk_i32 s0, 0x100
	v_cmp_gt_u32_e64 s[8:9], s0, v0
	v_rcp_iflag_f32_e32 v1, v1
	s_sub_i32 s0, 0, s48
	s_ashr_i32 s3, s2, 31
	s_lshl_b64 s[56:57], s[2:3], 8
	v_mul_f32_e32 v1, 0x4f7ffffe, v1
	v_cvt_u32_f32_e32 v2, v1
	v_mov_b32_e32 v23, 0x12c0
	v_mad_u32_u24 v8, v46, 30, v7
	v_lshl_or_b32 v50, v46, 2, v23
	v_mul_lo_u32 v3, s0, v2
	v_mul_hi_u32 v3, v2, v3
	v_add_u32_e32 v56, 0x800, v11
	v_cmp_le_u32_e64 s[10:11], s49, v47
	v_cmp_le_u32_e64 s[12:13], s33, v49
	v_cmp_gt_u32_e64 s[14:15], s33, v49
	v_cmp_le_u32_e64 s[16:17], s33, v48
	v_cmp_gt_u32_e64 s[18:19], s33, v48
	;; [unrolled: 2-line block ×3, first 2 shown]
	v_cmp_gt_u32_e64 s[24:25], 64, v0
	v_lshl_or_b32 v71, v47, 5, v7
	v_lshl_add_u32 v72, v25, 5, v7
	v_add_u32_e32 v73, v8, v9
	v_add_u32_e32 v74, v8, v10
	s_mov_b32 s68, s58
	s_mov_b32 s69, s59
	s_mov_b32 s60, s56
	s_mov_b32 s61, s57
	v_or_b32_e32 v1, 64, v0
	v_add_u32_e32 v75, v2, v3
	s_sub_i32 s70, s66, s63
	s_mov_b32 s71, 0x5040100
	s_mov_b32 s72, 0xff800000
	;; [unrolled: 1-line block ×4, first 2 shown]
	v_mov_b32_e32 v14, 0
	v_mov_b32_e32 v15, v34
	;; [unrolled: 1-line block ×16, first 2 shown]
	v_lshlrev_b32_e32 v76, 1, v0
	v_or_b32_e32 v77, 0x1200, v24
	v_or_b32_e32 v78, 0x1280, v24
	;; [unrolled: 1-line block ×5, first 2 shown]
	v_mov_b32_e32 v82, 0xff800000
	s_branch .LBB25_15
.LBB25_14:                              ;   in Loop: Header=BB25_15 Depth=1
	s_or_b64 exec, exec, s[0:1]
	v_mul_f32_e32 v14, v14, v84
	v_mul_f32_e32 v2, v2, v84
	;; [unrolled: 1-line block ×16, first 2 shown]
	v_mfma_f32_16x16x16_bf16 v[14:17], v[18:19], v[20:21], v[14:17]
	s_add_i32 s74, s74, s65
	s_add_i32 s64, s64, 1
	s_sub_i32 s70, s70, s65
	v_mfma_f32_16x16x16_bf16 v[2:5], v[18:19], v[40:41], v[2:5]
	s_cmp_gt_i32 s74, s43
	s_barrier
	v_mfma_f32_16x16x16_bf16 v[6:9], v[18:19], v[42:43], v[6:9]
	v_mfma_f32_16x16x16_bf16 v[10:13], v[18:19], v[44:45], v[10:13]
	s_cbranch_scc1 .LBB25_157
.LBB25_15:                              ; =>This Loop Header: Depth=1
                                        ;     Child Loop BB25_23 Depth 2
                                        ;     Child Loop BB25_29 Depth 2
	s_sub_i32 s0, s66, s74
	s_min_i32 s75, s0, s65
	v_cmp_le_u32_e64 s[28:29], s75, v46
	v_cmp_gt_u32_e64 s[26:27], s75, v46
	s_mov_b64 s[2:3], 0
                                        ; implicit-def: $vgpr18
	s_and_saveexec_b64 s[0:1], s[26:27]
	s_xor_b64 s[0:1], exec, s[0:1]
	s_cbranch_execnz .LBB25_68
; %bb.16:                               ;   in Loop: Header=BB25_15 Depth=1
	s_andn2_saveexec_b64 s[0:1], s[0:1]
	s_cbranch_execnz .LBB25_77
.LBB25_17:                              ;   in Loop: Header=BB25_15 Depth=1
	s_or_b64 exec, exec, s[0:1]
	s_and_saveexec_b64 s[0:1], s[2:3]
.LBB25_18:                              ;   in Loop: Header=BB25_15 Depth=1
	ds_write_b32 v50, v18
.LBB25_19:                              ;   in Loop: Header=BB25_15 Depth=1
	s_or_b64 exec, exec, s[0:1]
	s_min_u32 s76, s75, 16
	s_lshl_b32 s30, s76, 6
	v_cmp_gt_u32_e32 vcc, s30, v0
	s_waitcnt lgkmcnt(0)
	s_barrier
	s_and_saveexec_b64 s[0:1], vcc
	s_cbranch_execz .LBB25_30
; %bb.20:                               ;   in Loop: Header=BB25_15 Depth=1
	s_mul_i32 s2, s65, s64
	s_add_i32 s2, s63, s2
	s_sub_i32 s2, s66, s2
	s_min_i32 s31, s65, s2
	s_mov_b64 s[2:3], -1
	s_cmp_eq_u32 s31, 1
	v_mov_b32_e32 v18, v0
	s_cbranch_scc1 .LBB25_27
; %bb.21:                               ;   in Loop: Header=BB25_15 Depth=1
	s_min_u32 s2, s31, 16
	s_add_i32 s2, s2, -1
	s_and_b32 s2, s2, 0x3ffffff
	s_add_i32 s3, s2, -1
	s_cmp_lt_u32 s3, 2
	v_mov_b64_e32 v[18:19], v[0:1]
	s_cbranch_scc1 .LBB25_24
; %bb.22:                               ;   in Loop: Header=BB25_15 Depth=1
	s_min_i32 s31, s65, s70
	s_min_u32 s31, s31, 16
	s_add_i32 s31, s31, -1
	s_and_b32 s31, s31, 0x3ffffff
	s_add_i32 s31, s31, -1
	s_lshr_b32 s31, s31, 1
	s_add_i32 s31, s31, 1
	s_and_b32 s31, s31, -2
	v_mov_b64_e32 v[18:19], v[0:1]
.LBB25_23:                              ;   Parent Loop BB25_15 Depth=1
                                        ; =>  This Inner Loop Header: Depth=2
	v_lshrrev_b32_e32 v35, 6, v18
	v_add_u32_e32 v42, 0x80, v18
	v_lshl_add_u32 v43, v35, 2, v23
	v_lshrrev_b32_e32 v83, 6, v42
	ds_read2_b32 v[42:43], v43 offset1:1
	v_lshl_add_u32 v44, v83, 2, v23
	ds_read2_b32 v[44:45], v44 offset1:1
	v_mov_b64_e32 v[20:21], s[60:61]
	v_mov_b64_e32 v[40:41], s[56:57]
	s_waitcnt lgkmcnt(1)
	v_ashrrev_i32_e32 v88, 31, v42
	v_ashrrev_i32_e32 v89, 31, v43
	v_mad_u64_u32 v[84:85], s[34:35], s68, v43, v[20:21]
	v_mul_lo_u32 v43, s69, v43
	v_mad_u64_u32 v[86:87], s[34:35], s58, v42, v[40:41]
	v_mul_lo_u32 v42, s59, v42
	v_mul_lo_u32 v89, s68, v89
	;; [unrolled: 1-line block ×3, first 2 shown]
	s_waitcnt lgkmcnt(0)
	v_ashrrev_i32_e32 v90, 31, v44
	v_ashrrev_i32_e32 v91, 31, v45
	v_mad_u64_u32 v[20:21], s[34:35], s68, v45, v[20:21]
	v_mul_lo_u32 v92, s69, v45
	v_mad_u64_u32 v[40:41], s[34:35], s58, v44, v[40:41]
	v_mul_lo_u32 v93, s59, v44
	v_add3_u32 v85, v43, v85, v89
	v_add3_u32 v87, v42, v87, v88
	v_mul_lo_u32 v88, s68, v91
	v_mul_lo_u32 v89, s58, v90
	v_lshl_add_u64 v[42:43], v[36:37], 0, v[86:87]
	v_lshl_add_u64 v[44:45], v[36:37], 0, v[84:85]
	;; [unrolled: 1-line block ×4, first 2 shown]
	v_add3_u32 v21, v92, v21, v88
	v_add3_u32 v41, v93, v41, v89
	global_load_dword v88, v[42:43], off
	global_load_dword v89, v[44:45], off
	s_nop 0
	global_load_dword v86, v[86:87], off
	s_nop 0
	global_load_dword v84, v[84:85], off
	v_lshl_add_u64 v[42:43], v[36:37], 0, v[40:41]
	v_lshl_add_u64 v[44:45], v[36:37], 0, v[20:21]
	;; [unrolled: 1-line block ×4, first 2 shown]
	global_load_dword v42, v[42:43], off
	s_nop 0
	global_load_dword v43, v[44:45], off
	s_nop 0
	;; [unrolled: 2-line block ×3, first 2 shown]
	global_load_dword v20, v[20:21], off
	v_lshlrev_b32_e32 v21, 1, v19
	s_add_i32 s31, s31, -2
	v_lshl_add_u32 v41, v35, 7, v76
	v_and_b32_e32 v44, 0xffffff80, v21
	v_lshl_add_u32 v35, v35, 1, v56
	v_add_u32_e32 v21, 0x100, v21
	v_add_u32_e32 v19, 0x100, v19
	;; [unrolled: 1-line block ×3, first 2 shown]
	s_cmp_lg_u32 s31, 0
	v_add_u32_e32 v44, v76, v44
	v_lshl_add_u32 v45, v83, 7, v76
	v_and_b32_e32 v21, 0xffffff80, v21
	v_lshl_add_u32 v83, v83, 1, v56
	v_add_u32_e32 v21, v76, v21
	s_waitcnt vmcnt(6)
	v_cvt_pk_bf16_f32 v85, v88, v89
	s_waitcnt vmcnt(4)
	v_cvt_pk_bf16_f32 v84, v86, v84
	ds_write_b16 v41, v85
	ds_write_b16_d16_hi v44, v85
	ds_write_b32 v35, v84
	s_waitcnt vmcnt(2)
	v_cvt_pk_bf16_f32 v35, v42, v43
	s_waitcnt vmcnt(0)
	v_cvt_pk_bf16_f32 v20, v40, v20
	ds_write_b16 v45, v35
	ds_write_b16_d16_hi v21, v35
	ds_write_b32 v83, v20
	s_cbranch_scc1 .LBB25_23
.LBB25_24:                              ;   in Loop: Header=BB25_15 Depth=1
	s_bitcmp1_b32 s3, 1
	s_cbranch_scc1 .LBB25_26
; %bb.25:                               ;   in Loop: Header=BB25_15 Depth=1
	v_lshrrev_b32_e32 v18, 6, v18
	v_lshl_add_u32 v20, v18, 2, v23
	ds_read2_b32 v[20:21], v20 offset1:1
	v_mov_b32_e32 v40, s60
	v_mov_b32_e32 v41, s61
	;; [unrolled: 1-line block ×3, first 2 shown]
	v_lshlrev_b32_e32 v19, 1, v19
	s_waitcnt lgkmcnt(0)
	v_ashrrev_i32_e32 v42, 31, v21
	v_mul_lo_u32 v42, s68, v42
	v_mad_u64_u32 v[40:41], s[34:35], s68, v21, v[40:41]
	v_mul_lo_u32 v21, s69, v21
	v_ashrrev_i32_e32 v35, 31, v20
	v_add3_u32 v41, v21, v41, v42
	v_mov_b32_e32 v42, s56
	v_mul_lo_u32 v21, s58, v35
	v_mad_u64_u32 v[42:43], s[34:35], s58, v20, v[42:43]
	v_mul_lo_u32 v20, s59, v20
	v_add3_u32 v43, v20, v43, v21
	v_lshl_add_u64 v[20:21], v[36:37], 0, v[42:43]
	v_lshl_add_u64 v[44:45], v[36:37], 0, v[40:41]
	global_load_dword v35, v[20:21], off
	s_nop 0
	global_load_dword v44, v[44:45], off
	v_lshl_add_u64 v[20:21], v[38:39], 0, v[42:43]
	v_lshl_add_u64 v[40:41], v[38:39], 0, v[40:41]
	global_load_dword v20, v[20:21], off
	s_nop 0
	global_load_dword v21, v[40:41], off
	v_lshl_add_u32 v40, v18, 7, v76
	v_and_b32_e32 v19, 0xffffff80, v19
	v_lshl_add_u32 v18, v18, 1, v56
	v_add_u32_e32 v19, v76, v19
	s_waitcnt vmcnt(2)
	v_cvt_pk_bf16_f32 v35, v35, v44
	s_waitcnt vmcnt(0)
	v_cvt_pk_bf16_f32 v20, v20, v21
	ds_write_b16 v40, v35
	ds_write_b16_d16_hi v19, v35
	ds_write_b32 v18, v20
.LBB25_26:                              ;   in Loop: Header=BB25_15 Depth=1
	s_add_i32 s2, s2, 1
	s_and_b32 s3, s2, 0x7fffffe
	s_cmp_lg_u32 s2, s3
	v_lshl_or_b32 v18, s3, 6, v0
	s_cselect_b64 s[2:3], -1, 0
.LBB25_27:                              ;   in Loop: Header=BB25_15 Depth=1
	s_and_b64 vcc, exec, s[2:3]
	s_cbranch_vccz .LBB25_30
; %bb.28:                               ;   in Loop: Header=BB25_15 Depth=1
	v_lshrrev_b32_e32 v21, 6, v18
	v_lshl_add_u32 v19, v21, 7, v76
	v_lshl_add_u32 v20, v21, 1, v56
	;; [unrolled: 1-line block ×3, first 2 shown]
	s_mov_b64 s[2:3], 0
.LBB25_29:                              ;   Parent Loop BB25_15 Depth=1
                                        ; =>  This Inner Loop Header: Depth=2
	ds_read_b32 v35, v21
	v_mov_b64_e32 v[40:41], s[56:57]
	v_add_u32_e32 v18, 64, v18
	v_cmp_le_u32_e32 vcc, s30, v18
	v_add_u32_e32 v21, 4, v21
	s_waitcnt lgkmcnt(0)
	v_ashrrev_i32_e32 v42, 31, v35
	v_mad_u64_u32 v[40:41], s[34:35], s58, v35, v[40:41]
	v_mul_lo_u32 v35, s59, v35
	v_mul_lo_u32 v42, s58, v42
	v_add3_u32 v41, v35, v41, v42
	v_lshl_add_u64 v[42:43], v[36:37], 0, v[40:41]
	v_lshl_add_u64 v[40:41], v[38:39], 0, v[40:41]
	global_load_dword v35, v[42:43], off
	s_nop 0
	global_load_dword v40, v[40:41], off
	s_or_b64 s[2:3], vcc, s[2:3]
	s_waitcnt vmcnt(1)
	v_cvt_pk_bf16_f32 v35, v35, s0
	s_waitcnt vmcnt(0)
	v_cvt_pk_bf16_f32 v40, v40, s0
	ds_write_b16 v19, v35
	ds_write_b16 v20, v40
	v_add_u32_e32 v19, 0x80, v19
	v_add_u32_e32 v20, 2, v20
	s_andn2_b64 exec, exec, s[2:3]
	s_cbranch_execnz .LBB25_29
.LBB25_30:                              ;   in Loop: Header=BB25_15 Depth=1
	s_or_b64 exec, exec, s[0:1]
	v_mov_b32_e32 v40, 0
	v_mov_b32_e32 v18, 0
	;; [unrolled: 1-line block ×3, first 2 shown]
	s_waitcnt lgkmcnt(0)
	s_barrier
	s_and_saveexec_b64 s[0:1], s[26:27]
	s_cbranch_execz .LBB25_34
; %bb.31:                               ;   in Loop: Header=BB25_15 Depth=1
	ds_read_u16 v19, v57 offset:4
	ds_read_b32 v18, v57
	s_waitcnt lgkmcnt(1)
	v_and_b32_e32 v19, 0xffff, v19
	s_and_saveexec_b64 s[2:3], s[8:9]
	s_cbranch_execz .LBB25_33
; %bb.32:                               ;   in Loop: Header=BB25_15 Depth=1
	ds_read_u16 v20, v58
	s_waitcnt lgkmcnt(0)
	v_perm_b32 v19, v20, v19, s71
.LBB25_33:                              ;   in Loop: Header=BB25_15 Depth=1
	s_or_b64 exec, exec, s[2:3]
.LBB25_34:                              ;   in Loop: Header=BB25_15 Depth=1
	s_or_b64 exec, exec, s[0:1]
	s_waitcnt lgkmcnt(0)
	v_mfma_f32_16x16x16_bf16 v[18:21], v[28:29], v[18:19], 0
	v_mov_b32_e32 v41, 0
	s_and_saveexec_b64 s[0:1], s[26:27]
	s_cbranch_execz .LBB25_38
; %bb.35:                               ;   in Loop: Header=BB25_15 Depth=1
	ds_read_u16 v35, v57 offset:36
	ds_read_b32 v40, v57 offset:32
	s_waitcnt lgkmcnt(1)
	v_and_b32_e32 v41, 0xffff, v35
	s_and_saveexec_b64 s[2:3], s[8:9]
	s_cbranch_execz .LBB25_37
; %bb.36:                               ;   in Loop: Header=BB25_15 Depth=1
	ds_read_u16 v35, v59
	s_waitcnt lgkmcnt(0)
	v_perm_b32 v41, v35, v41, s71
.LBB25_37:                              ;   in Loop: Header=BB25_15 Depth=1
	s_or_b64 exec, exec, s[2:3]
.LBB25_38:                              ;   in Loop: Header=BB25_15 Depth=1
	s_or_b64 exec, exec, s[0:1]
	s_waitcnt lgkmcnt(0)
	v_mfma_f32_16x16x16_bf16 v[18:21], v[26:27], v[40:41], v[18:21]
	v_mov_b32_e32 v42, 0
	v_mov_b32_e32 v44, 0
	v_mov_b32_e32 v45, 0
	s_and_saveexec_b64 s[0:1], s[26:27]
	s_cbranch_execz .LBB25_42
; %bb.39:                               ;   in Loop: Header=BB25_15 Depth=1
	ds_read_u16 v35, v57 offset:68
	ds_read_b32 v44, v57 offset:64
	s_waitcnt lgkmcnt(1)
	v_and_b32_e32 v45, 0xffff, v35
	s_and_saveexec_b64 s[2:3], s[8:9]
	s_cbranch_execz .LBB25_41
; %bb.40:                               ;   in Loop: Header=BB25_15 Depth=1
	ds_read_u16 v35, v60
	s_waitcnt lgkmcnt(0)
	v_perm_b32 v45, v35, v45, s71
.LBB25_41:                              ;   in Loop: Header=BB25_15 Depth=1
	s_or_b64 exec, exec, s[2:3]
.LBB25_42:                              ;   in Loop: Header=BB25_15 Depth=1
	s_or_b64 exec, exec, s[0:1]
	s_waitcnt lgkmcnt(0)
	v_mfma_f32_16x16x16_bf16 v[18:21], v[32:33], v[44:45], v[18:21]
	v_mov_b32_e32 v43, 0
	s_and_saveexec_b64 s[0:1], s[26:27]
	s_cbranch_execz .LBB25_46
; %bb.43:                               ;   in Loop: Header=BB25_15 Depth=1
	ds_read_u16 v35, v57 offset:100
	ds_read_b32 v42, v57 offset:96
	s_waitcnt lgkmcnt(1)
	v_and_b32_e32 v43, 0xffff, v35
	s_and_saveexec_b64 s[2:3], s[8:9]
	s_cbranch_execz .LBB25_45
; %bb.44:                               ;   in Loop: Header=BB25_15 Depth=1
	ds_read_u16 v35, v61
	s_waitcnt lgkmcnt(0)
	v_perm_b32 v43, v35, v43, s71
.LBB25_45:                              ;   in Loop: Header=BB25_15 Depth=1
	s_or_b64 exec, exec, s[2:3]
.LBB25_46:                              ;   in Loop: Header=BB25_15 Depth=1
	s_or_b64 exec, exec, s[0:1]
	s_waitcnt lgkmcnt(0)
	v_mfma_f32_16x16x16_bf16 v[40:43], v[30:31], v[42:43], v[18:21]
	s_or_b64 s[34:35], s[28:29], s[12:13]
	s_or_b64 s[30:31], s[28:29], s[10:11]
	;; [unrolled: 1-line block ×4, first 2 shown]
	s_nop 3
	v_cndmask_b32_e64 v20, v41, v82, s[34:35]
	v_cndmask_b32_e64 v40, v40, v82, s[30:31]
	ds_bpermute_b32 v21, v62, v20
	ds_bpermute_b32 v18, v62, v40
	v_max_f32_e32 v35, v20, v20
	v_max_f32_e32 v19, v40, v40
	s_waitcnt lgkmcnt(1)
	v_max_f32_e32 v21, v21, v21
	s_waitcnt lgkmcnt(0)
	v_max_f32_e32 v18, v18, v18
	v_max_f32_e32 v35, v35, v21
	;; [unrolled: 1-line block ×3, first 2 shown]
	ds_bpermute_b32 v41, v63, v35
	ds_bpermute_b32 v19, v63, v18
	v_cndmask_b32_e64 v21, v42, v82, s[36:37]
	s_waitcnt lgkmcnt(1)
	v_max_f32_e32 v41, v41, v41
	s_waitcnt lgkmcnt(0)
	v_max_f32_e32 v19, v19, v19
	v_max_f32_e32 v41, v35, v41
	;; [unrolled: 1-line block ×3, first 2 shown]
	ds_bpermute_b32 v42, v64, v41
	ds_bpermute_b32 v19, v64, v18
	v_cndmask_b32_e64 v35, v43, v82, s[28:29]
	ds_bpermute_b32 v43, v62, v21
	ds_bpermute_b32 v44, v62, v35
	s_waitcnt lgkmcnt(3)
	v_max_f32_e32 v42, v42, v42
	s_waitcnt lgkmcnt(2)
	v_max_f32_e32 v19, v19, v19
	v_max_f32_e32 v41, v41, v42
	;; [unrolled: 1-line block ×3, first 2 shown]
	s_waitcnt lgkmcnt(1)
	v_max_f32_e32 v43, v43, v43
	v_max_f32_e32 v18, v18, v19
	;; [unrolled: 1-line block ×3, first 2 shown]
	ds_bpermute_b32 v19, v65, v18
	ds_bpermute_b32 v43, v63, v42
	v_max_f32_e32 v45, v35, v35
	s_waitcnt lgkmcnt(2)
	v_max_f32_e32 v44, v44, v44
	v_max_f32_e32 v44, v45, v44
	ds_bpermute_b32 v45, v63, v44
	s_waitcnt lgkmcnt(2)
	v_max_f32_e32 v19, v19, v19
	s_waitcnt lgkmcnt(1)
	v_max_f32_e32 v43, v43, v43
	v_max_f32_e32 v18, v18, v19
	ds_bpermute_b32 v19, v65, v41
	v_max_f32_e32 v42, v42, v43
	ds_bpermute_b32 v43, v64, v42
	s_waitcnt lgkmcnt(2)
	v_max_f32_e32 v45, v45, v45
	v_max_f32_e32 v44, v44, v45
	ds_bpermute_b32 v45, v64, v44
	s_waitcnt lgkmcnt(2)
	v_max_f32_e32 v19, v19, v19
	v_max_f32_e32 v19, v41, v19
	s_waitcnt lgkmcnt(1)
	v_max_f32_e32 v41, v43, v43
	v_max_f32_e32 v41, v42, v41
	ds_bpermute_b32 v43, v65, v41
	s_waitcnt lgkmcnt(1)
	v_max_f32_e32 v42, v45, v45
	v_max_f32_e32 v44, v44, v42
	ds_bpermute_b32 v45, v65, v44
	ds_bpermute_b32 v42, v51, v19
	s_waitcnt lgkmcnt(2)
	v_max_f32_e32 v19, v43, v43
	v_max_f32_e32 v19, v41, v19
	ds_bpermute_b32 v41, v51, v19
	s_waitcnt lgkmcnt(2)
	v_max_f32_e32 v19, v45, v45
	v_max_f32_e32 v19, v44, v19
	ds_bpermute_b32 v18, v51, v18
	ds_bpermute_b32 v19, v51, v19
	s_and_saveexec_b64 s[0:1], s[6:7]
	s_cbranch_execz .LBB25_49
; %bb.47:                               ;   in Loop: Header=BB25_15 Depth=1
	ds_read_b96 v[84:86], v78
	s_waitcnt lgkmcnt(2)
	v_max_f32_e32 v18, v18, v18
	v_max_f32_e32 v43, v42, v42
	s_waitcnt lgkmcnt(0)
	v_max_f32_e32 v42, v84, v84
	v_max_f32_e32 v44, v85, v85
	;; [unrolled: 1-line block ×7, first 2 shown]
	ds_write_b96 v77, v[84:86]
	ds_write_b96 v78, v[42:44]
	s_and_b64 exec, exec, s[24:25]
	s_cbranch_execz .LBB25_49
; %bb.48:                               ;   in Loop: Header=BB25_15 Depth=1
	ds_read_b32 v18, v67
	v_max_f32_e32 v19, v19, v19
	s_waitcnt lgkmcnt(0)
	ds_write_b32 v66, v18
	v_max_f32_e32 v18, v18, v18
	v_max_f32_e32 v18, v18, v19
	ds_write_b32 v67, v18
.LBB25_49:                              ;   in Loop: Header=BB25_15 Depth=1
	s_or_b64 exec, exec, s[0:1]
	s_waitcnt lgkmcnt(1)
	v_mov_b32_e32 v18, 0
	s_waitcnt lgkmcnt(0)
	v_mov_b32_e32 v19, 0
	s_barrier
	s_and_saveexec_b64 s[0:1], s[26:27]
	s_cbranch_execz .LBB25_51
; %bb.50:                               ;   in Loop: Header=BB25_15 Depth=1
	ds_read_b32 v19, v78
	s_waitcnt lgkmcnt(0)
	v_sub_f32_e32 v40, v40, v19
	v_mul_f32_e32 v40, 0x3fb8aa3b, v40
	v_exp_f32_e32 v40, v40
	v_cmp_lg_f32_e32 vcc, s72, v19
	s_and_b64 vcc, s[4:5], vcc
	s_nop 0
	v_cndmask_b32_e32 v19, 0, v40, vcc
.LBB25_51:                              ;   in Loop: Header=BB25_15 Depth=1
	s_or_b64 exec, exec, s[0:1]
	ds_bpermute_b32 v40, v62, v19
	s_waitcnt lgkmcnt(0)
	v_add_f32_e32 v40, v19, v40
	ds_bpermute_b32 v41, v63, v40
	s_waitcnt lgkmcnt(0)
	v_add_f32_e32 v40, v40, v41
	;; [unrolled: 3-line block ×4, first 2 shown]
	ds_bpermute_b32 v42, v51, v40
	s_and_saveexec_b64 s[0:1], s[26:27]
	s_cbranch_execz .LBB25_53
; %bb.52:                               ;   in Loop: Header=BB25_15 Depth=1
	ds_read_b32 v18, v78 offset:4
	s_waitcnt lgkmcnt(0)
	v_sub_f32_e32 v20, v20, v18
	v_mul_f32_e32 v20, 0x3fb8aa3b, v20
	v_exp_f32_e32 v20, v20
	v_cmp_lg_f32_e32 vcc, s72, v18
	s_and_b64 vcc, s[14:15], vcc
	s_nop 0
	v_cndmask_b32_e32 v18, 0, v20, vcc
.LBB25_53:                              ;   in Loop: Header=BB25_15 Depth=1
	s_or_b64 exec, exec, s[0:1]
	ds_bpermute_b32 v20, v62, v18
	s_waitcnt lgkmcnt(0)
	v_add_f32_e32 v20, v18, v20
	ds_bpermute_b32 v40, v63, v20
	s_waitcnt lgkmcnt(0)
	v_add_f32_e32 v20, v20, v40
	;; [unrolled: 3-line block ×4, first 2 shown]
	ds_bpermute_b32 v41, v51, v20
	v_mov_b32_e32 v20, 0
	s_and_saveexec_b64 s[0:1], s[26:27]
	s_cbranch_execz .LBB25_55
; %bb.54:                               ;   in Loop: Header=BB25_15 Depth=1
	ds_read_b32 v20, v78 offset:8
	s_waitcnt lgkmcnt(0)
	v_sub_f32_e32 v21, v21, v20
	v_mul_f32_e32 v21, 0x3fb8aa3b, v21
	v_exp_f32_e32 v21, v21
	v_cmp_lg_f32_e32 vcc, s72, v20
	s_and_b64 vcc, s[18:19], vcc
	s_nop 0
	v_cndmask_b32_e32 v20, 0, v21, vcc
.LBB25_55:                              ;   in Loop: Header=BB25_15 Depth=1
	s_or_b64 exec, exec, s[0:1]
	ds_bpermute_b32 v21, v62, v20
	v_mov_b32_e32 v43, 0xff800000
	s_waitcnt lgkmcnt(0)
	v_add_f32_e32 v21, v20, v21
	ds_bpermute_b32 v40, v63, v21
	s_waitcnt lgkmcnt(0)
	v_add_f32_e32 v21, v21, v40
	ds_bpermute_b32 v40, v64, v21
	;; [unrolled: 3-line block ×4, first 2 shown]
	s_and_saveexec_b64 s[0:1], s[24:25]
; %bb.56:                               ;   in Loop: Header=BB25_15 Depth=1
	ds_read_b32 v43, v67
; %bb.57:                               ;   in Loop: Header=BB25_15 Depth=1
	s_or_b64 exec, exec, s[0:1]
	v_mov_b32_e32 v21, 0
	s_and_saveexec_b64 s[0:1], s[26:27]
	s_cbranch_execz .LBB25_59
; %bb.58:                               ;   in Loop: Header=BB25_15 Depth=1
	s_waitcnt lgkmcnt(0)
	v_sub_f32_e32 v21, v35, v43
	v_mul_f32_e32 v21, 0x3fb8aa3b, v21
	v_exp_f32_e32 v21, v21
	v_cmp_lg_f32_e32 vcc, s72, v43
	s_and_b64 vcc, s[22:23], vcc
	s_nop 0
	v_cndmask_b32_e32 v21, 0, v21, vcc
.LBB25_59:                              ;   in Loop: Header=BB25_15 Depth=1
	s_or_b64 exec, exec, s[0:1]
	ds_bpermute_b32 v35, v62, v21
	s_waitcnt lgkmcnt(0)
	v_add_f32_e32 v35, v21, v35
	ds_bpermute_b32 v43, v63, v35
	s_waitcnt lgkmcnt(0)
	v_add_f32_e32 v35, v35, v43
	;; [unrolled: 3-line block ×4, first 2 shown]
	ds_bpermute_b32 v35, v51, v35
	s_and_saveexec_b64 s[2:3], s[6:7]
	s_cbranch_execz .LBB25_96
; %bb.60:                               ;   in Loop: Header=BB25_15 Depth=1
	s_and_saveexec_b64 s[0:1], s[10:11]
	s_xor_b64 s[0:1], exec, s[0:1]
	s_cbranch_execnz .LBB25_78
; %bb.61:                               ;   in Loop: Header=BB25_15 Depth=1
	s_andn2_saveexec_b64 s[26:27], s[0:1]
	s_cbranch_execnz .LBB25_79
.LBB25_62:                              ;   in Loop: Header=BB25_15 Depth=1
	s_or_b64 exec, exec, s[26:27]
	s_and_saveexec_b64 s[0:1], s[12:13]
	s_xor_b64 s[0:1], exec, s[0:1]
	s_cbranch_execnz .LBB25_82
.LBB25_63:                              ;   in Loop: Header=BB25_15 Depth=1
	s_andn2_saveexec_b64 s[26:27], s[0:1]
	s_cbranch_execnz .LBB25_83
.LBB25_64:                              ;   in Loop: Header=BB25_15 Depth=1
	s_or_b64 exec, exec, s[26:27]
	s_and_saveexec_b64 s[0:1], s[16:17]
	s_xor_b64 s[0:1], exec, s[0:1]
	s_cbranch_execnz .LBB25_86
.LBB25_65:                              ;   in Loop: Header=BB25_15 Depth=1
	s_andn2_saveexec_b64 s[26:27], s[0:1]
	s_cbranch_execnz .LBB25_87
.LBB25_66:                              ;   in Loop: Header=BB25_15 Depth=1
	s_or_b64 exec, exec, s[26:27]
	s_and_saveexec_b64 s[0:1], s[20:21]
	s_xor_b64 s[0:1], exec, s[0:1]
	s_cbranch_execnz .LBB25_90
.LBB25_67:                              ;   in Loop: Header=BB25_15 Depth=1
	s_andn2_saveexec_b64 s[0:1], s[0:1]
	s_cbranch_execnz .LBB25_93
	s_branch .LBB25_96
.LBB25_68:                              ;   in Loop: Header=BB25_15 Depth=1
	s_andn2_b64 vcc, exec, s[52:53]
	v_add_u32_e32 v18, s74, v46
	s_cbranch_vccnz .LBB25_76
; %bb.69:                               ;   in Loop: Header=BB25_15 Depth=1
	s_mov_b64 s[2:3], -1
	s_and_b64 vcc, exec, s[54:55]
                                        ; implicit-def: $vgpr19
	s_cbranch_vccz .LBB25_73
; %bb.70:                               ;   in Loop: Header=BB25_15 Depth=1
	v_cmp_le_i32_e32 vcc, s62, v18
	v_mov_b32_e32 v19, v18
	s_and_saveexec_b64 s[2:3], vcc
	s_cbranch_execz .LBB25_72
; %bb.71:                               ;   in Loop: Header=BB25_15 Depth=1
	v_sub_u32_e32 v20, 0, v18
	v_max_i32_e32 v20, v18, v20
	v_mul_hi_u32 v21, v20, v75
	v_mul_lo_u32 v21, v21, s48
	v_sub_u32_e32 v20, v20, v21
	v_subrev_u32_e32 v21, s48, v20
	v_cmp_le_u32_e32 vcc, s48, v20
	v_ashrrev_i32_e32 v19, 31, v18
	s_nop 0
	v_cndmask_b32_e32 v20, v20, v21, vcc
	v_subrev_u32_e32 v21, s48, v20
	v_cmp_le_u32_e32 vcc, s48, v20
	s_nop 1
	v_cndmask_b32_e32 v20, v20, v21, vcc
	v_xor_b32_e32 v20, v20, v19
	v_sub_u32_e32 v19, v20, v19
.LBB25_72:                              ;   in Loop: Header=BB25_15 Depth=1
	s_or_b64 exec, exec, s[2:3]
	s_mov_b64 s[2:3], 0
.LBB25_73:                              ;   in Loop: Header=BB25_15 Depth=1
	s_andn2_b64 vcc, exec, s[2:3]
	s_cbranch_vccnz .LBB25_75
; %bb.74:                               ;   in Loop: Header=BB25_15 Depth=1
	v_and_b32_e32 v19, s67, v18
.LBB25_75:                              ;   in Loop: Header=BB25_15 Depth=1
	v_mov_b32_e32 v18, v19
.LBB25_76:                              ;   in Loop: Header=BB25_15 Depth=1
	s_and_b64 s[2:3], s[40:41], exec
	s_andn2_saveexec_b64 s[0:1], s[0:1]
	s_cbranch_execz .LBB25_17
.LBB25_77:                              ;   in Loop: Header=BB25_15 Depth=1
	s_andn2_b64 s[2:3], s[2:3], exec
	s_and_b64 s[30:31], s[40:41], exec
	v_mov_b32_e32 v18, 0
	s_or_b64 s[2:3], s[2:3], s[30:31]
	s_or_b64 exec, exec, s[0:1]
	s_and_saveexec_b64 s[0:1], s[2:3]
	s_cbranch_execnz .LBB25_18
	s_branch .LBB25_19
.LBB25_78:                              ;   in Loop: Header=BB25_15 Depth=1
	ds_write_b32 v80, v34
	ds_write_b32 v79, v34
                                        ; implicit-def: $vgpr42
	s_andn2_saveexec_b64 s[26:27], s[0:1]
	s_cbranch_execz .LBB25_62
.LBB25_79:                              ;   in Loop: Header=BB25_15 Depth=1
	ds_read_b32 v45, v77
	ds_read_b32 v43, v81
	v_mov_b32_e32 v44, 0
	s_waitcnt lgkmcnt(1)
	v_cmp_neq_f32_e32 vcc, s72, v45
	s_and_saveexec_b64 s[0:1], vcc
	s_cbranch_execz .LBB25_81
; %bb.80:                               ;   in Loop: Header=BB25_15 Depth=1
	ds_read_b32 v44, v78
	s_waitcnt lgkmcnt(0)
	v_sub_f32_e32 v44, v45, v44
	v_mul_f32_e32 v44, 0x3fb8aa3b, v44
	v_exp_f32_e32 v44, v44
.LBB25_81:                              ;   in Loop: Header=BB25_15 Depth=1
	s_or_b64 exec, exec, s[0:1]
	s_waitcnt lgkmcnt(0)
	v_mul_f32_e32 v45, v43, v44
	v_fmac_f32_e32 v42, v43, v44
	v_div_scale_f32 v43, s[0:1], v42, v42, v45
	v_rcp_f32_e32 v44, v43
	s_nop 0
	v_fma_f32 v83, -v43, v44, 1.0
	v_fmac_f32_e32 v44, v83, v44
	v_div_scale_f32 v83, vcc, v45, v42, v45
	v_mul_f32_e32 v84, v83, v44
	v_fma_f32 v85, -v43, v84, v83
	v_fmac_f32_e32 v84, v85, v44
	v_fma_f32 v43, -v43, v84, v83
	v_div_fmas_f32 v43, v43, v44, v84
	v_div_scale_f32 v44, s[0:1], v42, v42, 1.0
	v_rcp_f32_e32 v83, v44
	v_div_fixup_f32 v43, v43, v42, v45
	v_cmp_lt_f32_e64 s[0:1], 0, v42
	v_fma_f32 v45, -v44, v83, 1.0
	v_fmac_f32_e32 v83, v45, v83
	v_div_scale_f32 v45, vcc, 1.0, v42, 1.0
	v_mul_f32_e32 v84, v45, v83
	v_fma_f32 v85, -v44, v84, v45
	v_fmac_f32_e32 v84, v85, v83
	v_fma_f32 v44, -v44, v84, v45
	v_div_fmas_f32 v44, v44, v83, v84
	v_cndmask_b32_e64 v43, 0, v43, s[0:1]
	v_div_fixup_f32 v44, v44, v42, 1.0
	v_cndmask_b32_e64 v44, 0, v44, s[0:1]
	ds_write_b32 v80, v43
	ds_write_b32 v79, v44
	ds_write_b32 v81, v42
	s_or_b64 exec, exec, s[26:27]
	s_and_saveexec_b64 s[0:1], s[12:13]
	s_xor_b64 s[0:1], exec, s[0:1]
	s_cbranch_execz .LBB25_63
.LBB25_82:                              ;   in Loop: Header=BB25_15 Depth=1
	ds_write_b32 v80, v34 offset:4
	ds_write_b32 v79, v34 offset:4
                                        ; implicit-def: $vgpr41
	s_andn2_saveexec_b64 s[26:27], s[0:1]
	s_cbranch_execz .LBB25_64
.LBB25_83:                              ;   in Loop: Header=BB25_15 Depth=1
	ds_read_b32 v44, v77 offset:4
	ds_read_b32 v42, v81 offset:4
	v_mov_b32_e32 v43, 0
	s_waitcnt lgkmcnt(1)
	v_cmp_neq_f32_e32 vcc, s72, v44
	s_and_saveexec_b64 s[0:1], vcc
	s_cbranch_execz .LBB25_85
; %bb.84:                               ;   in Loop: Header=BB25_15 Depth=1
	ds_read_b32 v43, v78 offset:4
	s_waitcnt lgkmcnt(0)
	v_sub_f32_e32 v43, v44, v43
	v_mul_f32_e32 v43, 0x3fb8aa3b, v43
	v_exp_f32_e32 v43, v43
.LBB25_85:                              ;   in Loop: Header=BB25_15 Depth=1
	s_or_b64 exec, exec, s[0:1]
	s_waitcnt lgkmcnt(0)
	v_mul_f32_e32 v44, v42, v43
	v_fmac_f32_e32 v41, v42, v43
	v_div_scale_f32 v42, s[0:1], v41, v41, v44
	v_rcp_f32_e32 v43, v42
	s_nop 0
	v_fma_f32 v45, -v42, v43, 1.0
	v_fmac_f32_e32 v43, v45, v43
	v_div_scale_f32 v45, vcc, v44, v41, v44
	v_mul_f32_e32 v83, v45, v43
	v_fma_f32 v84, -v42, v83, v45
	v_fmac_f32_e32 v83, v84, v43
	v_fma_f32 v42, -v42, v83, v45
	v_div_fmas_f32 v42, v42, v43, v83
	v_div_scale_f32 v43, s[0:1], v41, v41, 1.0
	v_rcp_f32_e32 v45, v43
	v_div_fixup_f32 v42, v42, v41, v44
	v_cmp_lt_f32_e64 s[0:1], 0, v41
	v_fma_f32 v44, -v43, v45, 1.0
	v_fmac_f32_e32 v45, v44, v45
	v_div_scale_f32 v44, vcc, 1.0, v41, 1.0
	v_mul_f32_e32 v83, v44, v45
	v_fma_f32 v84, -v43, v83, v44
	v_fmac_f32_e32 v83, v84, v45
	v_fma_f32 v43, -v43, v83, v44
	v_div_fmas_f32 v43, v43, v45, v83
	v_cndmask_b32_e64 v42, 0, v42, s[0:1]
	v_div_fixup_f32 v43, v43, v41, 1.0
	v_cndmask_b32_e64 v43, 0, v43, s[0:1]
	ds_write_b32 v80, v42 offset:4
	ds_write_b32 v79, v43 offset:4
	;; [unrolled: 1-line block ×3, first 2 shown]
	s_or_b64 exec, exec, s[26:27]
	s_and_saveexec_b64 s[0:1], s[16:17]
	s_xor_b64 s[0:1], exec, s[0:1]
	s_cbranch_execz .LBB25_65
.LBB25_86:                              ;   in Loop: Header=BB25_15 Depth=1
	ds_write_b32 v80, v34 offset:8
	ds_write_b32 v79, v34 offset:8
                                        ; implicit-def: $vgpr40
	s_andn2_saveexec_b64 s[26:27], s[0:1]
	s_cbranch_execz .LBB25_66
.LBB25_87:                              ;   in Loop: Header=BB25_15 Depth=1
	ds_read_b32 v43, v77 offset:8
	ds_read_b32 v41, v81 offset:8
	v_mov_b32_e32 v42, 0
	s_waitcnt lgkmcnt(1)
	v_cmp_neq_f32_e32 vcc, s72, v43
	s_and_saveexec_b64 s[0:1], vcc
	s_cbranch_execz .LBB25_89
; %bb.88:                               ;   in Loop: Header=BB25_15 Depth=1
	ds_read_b32 v42, v78 offset:8
	s_waitcnt lgkmcnt(0)
	v_sub_f32_e32 v42, v43, v42
	v_mul_f32_e32 v42, 0x3fb8aa3b, v42
	v_exp_f32_e32 v42, v42
.LBB25_89:                              ;   in Loop: Header=BB25_15 Depth=1
	s_or_b64 exec, exec, s[0:1]
	s_waitcnt lgkmcnt(0)
	v_mul_f32_e32 v43, v41, v42
	v_fmac_f32_e32 v40, v41, v42
	v_div_scale_f32 v41, s[0:1], v40, v40, v43
	v_rcp_f32_e32 v42, v41
	s_nop 0
	v_fma_f32 v44, -v41, v42, 1.0
	v_fmac_f32_e32 v42, v44, v42
	v_div_scale_f32 v44, vcc, v43, v40, v43
	v_mul_f32_e32 v45, v44, v42
	v_fma_f32 v83, -v41, v45, v44
	v_fmac_f32_e32 v45, v83, v42
	v_fma_f32 v41, -v41, v45, v44
	v_div_fmas_f32 v41, v41, v42, v45
	v_div_scale_f32 v42, s[0:1], v40, v40, 1.0
	v_rcp_f32_e32 v44, v42
	v_div_fixup_f32 v41, v41, v40, v43
	v_cmp_lt_f32_e64 s[0:1], 0, v40
	v_fma_f32 v43, -v42, v44, 1.0
	v_fmac_f32_e32 v44, v43, v44
	v_div_scale_f32 v43, vcc, 1.0, v40, 1.0
	v_mul_f32_e32 v45, v43, v44
	v_fma_f32 v83, -v42, v45, v43
	v_fmac_f32_e32 v45, v83, v44
	v_fma_f32 v42, -v42, v45, v43
	v_div_fmas_f32 v42, v42, v44, v45
	v_cndmask_b32_e64 v41, 0, v41, s[0:1]
	v_div_fixup_f32 v42, v42, v40, 1.0
	v_cndmask_b32_e64 v42, 0, v42, s[0:1]
	ds_write_b32 v80, v41 offset:8
	ds_write_b32 v79, v42 offset:8
	;; [unrolled: 1-line block ×3, first 2 shown]
	s_or_b64 exec, exec, s[26:27]
	s_and_saveexec_b64 s[0:1], s[20:21]
	s_xor_b64 s[0:1], exec, s[0:1]
	s_cbranch_execz .LBB25_67
.LBB25_90:                              ;   in Loop: Header=BB25_15 Depth=1
	s_and_saveexec_b64 s[26:27], s[24:25]
	s_cbranch_execz .LBB25_92
; %bb.91:                               ;   in Loop: Header=BB25_15 Depth=1
	ds_write_b32 v69, v34
	ds_write_b32 v68, v34
.LBB25_92:                              ;   in Loop: Header=BB25_15 Depth=1
	s_or_b64 exec, exec, s[26:27]
                                        ; implicit-def: $vgpr35
	s_andn2_saveexec_b64 s[0:1], s[0:1]
	s_cbranch_execz .LBB25_96
.LBB25_93:                              ;   in Loop: Header=BB25_15 Depth=1
	ds_read_b32 v42, v66
	ds_read_b32 v40, v70
	v_mov_b32_e32 v41, 0
	s_waitcnt lgkmcnt(1)
	v_cmp_neq_f32_e32 vcc, s72, v42
	s_and_saveexec_b64 s[0:1], vcc
	s_cbranch_execz .LBB25_95
; %bb.94:                               ;   in Loop: Header=BB25_15 Depth=1
	ds_read_b32 v41, v67
	s_waitcnt lgkmcnt(0)
	v_sub_f32_e32 v41, v42, v41
	v_mul_f32_e32 v41, 0x3fb8aa3b, v41
	v_exp_f32_e32 v41, v41
.LBB25_95:                              ;   in Loop: Header=BB25_15 Depth=1
	s_or_b64 exec, exec, s[0:1]
	s_waitcnt lgkmcnt(0)
	v_mul_f32_e32 v42, v40, v41
	v_fmac_f32_e32 v35, v40, v41
	v_div_scale_f32 v40, s[0:1], v35, v35, v42
	v_rcp_f32_e32 v41, v40
	s_nop 0
	v_fma_f32 v43, -v40, v41, 1.0
	v_fmac_f32_e32 v41, v43, v41
	v_div_scale_f32 v43, vcc, v42, v35, v42
	v_mul_f32_e32 v44, v43, v41
	v_fma_f32 v45, -v40, v44, v43
	v_fmac_f32_e32 v44, v45, v41
	v_fma_f32 v40, -v40, v44, v43
	v_div_fmas_f32 v40, v40, v41, v44
	v_div_scale_f32 v41, s[0:1], v35, v35, 1.0
	v_rcp_f32_e32 v43, v41
	v_div_fixup_f32 v40, v40, v35, v42
	v_cmp_lt_f32_e64 s[0:1], 0, v35
	v_fma_f32 v42, -v41, v43, 1.0
	v_fmac_f32_e32 v43, v42, v43
	v_div_scale_f32 v42, vcc, 1.0, v35, 1.0
	v_mul_f32_e32 v44, v42, v43
	v_fma_f32 v45, -v41, v44, v42
	v_fmac_f32_e32 v44, v45, v43
	v_fma_f32 v41, -v41, v44, v42
	v_div_fmas_f32 v41, v41, v43, v44
	v_cndmask_b32_e64 v40, 0, v40, s[0:1]
	v_div_fixup_f32 v41, v41, v35, 1.0
	v_cndmask_b32_e64 v41, 0, v41, s[0:1]
	ds_write_b32 v69, v40
	ds_write_b32 v68, v41
	;; [unrolled: 1-line block ×3, first 2 shown]
.LBB25_96:                              ;   in Loop: Header=BB25_15 Depth=1
	s_or_b64 exec, exec, s[2:3]
	s_xor_b64 s[30:31], s[30:31], -1
	s_xor_b64 s[26:27], s[34:35], -1
	;; [unrolled: 1-line block ×4, first 2 shown]
	s_waitcnt lgkmcnt(0)
	v_mov_b32_e32 v35, 0
	v_mov_b32_e32 v84, 0
	s_barrier
	s_and_saveexec_b64 s[28:29], s[4:5]
; %bb.97:                               ;   in Loop: Header=BB25_15 Depth=1
	ds_read_b32 v84, v80
; %bb.98:                               ;   in Loop: Header=BB25_15 Depth=1
	s_or_b64 exec, exec, s[28:29]
	s_and_saveexec_b64 s[28:29], s[30:31]
	s_cbranch_execz .LBB25_100
; %bb.99:                               ;   in Loop: Header=BB25_15 Depth=1
	ds_read_b32 v35, v79
	s_waitcnt lgkmcnt(0)
	v_mul_f32_e32 v19, v19, v35
	v_cvt_pk_bf16_f32 v35, v19, s0
.LBB25_100:                             ;   in Loop: Header=BB25_15 Depth=1
	s_or_b64 exec, exec, s[28:29]
	v_mov_b32_e32 v19, 0
	v_mov_b32_e32 v83, 0
	ds_write_b16 v71, v35
	s_and_saveexec_b64 s[28:29], s[14:15]
; %bb.101:                              ;   in Loop: Header=BB25_15 Depth=1
	ds_read_b32 v83, v80 offset:4
; %bb.102:                              ;   in Loop: Header=BB25_15 Depth=1
	s_or_b64 exec, exec, s[28:29]
	s_and_saveexec_b64 s[28:29], s[26:27]
	s_cbranch_execz .LBB25_104
; %bb.103:                              ;   in Loop: Header=BB25_15 Depth=1
	ds_read_b32 v19, v79 offset:4
	s_waitcnt lgkmcnt(0)
	v_mul_f32_e32 v18, v18, v19
	v_cvt_pk_bf16_f32 v19, v18, s0
.LBB25_104:                             ;   in Loop: Header=BB25_15 Depth=1
	s_or_b64 exec, exec, s[28:29]
	v_mov_b32_e32 v18, 0
	v_mov_b32_e32 v85, 0
	ds_write_b16 v71, v19 offset:32
	s_and_saveexec_b64 s[26:27], s[18:19]
; %bb.105:                              ;   in Loop: Header=BB25_15 Depth=1
	ds_read_b32 v85, v80 offset:8
; %bb.106:                              ;   in Loop: Header=BB25_15 Depth=1
	s_or_b64 exec, exec, s[26:27]
	s_and_saveexec_b64 s[26:27], s[2:3]
	s_cbranch_execz .LBB25_108
; %bb.107:                              ;   in Loop: Header=BB25_15 Depth=1
	ds_read_b32 v18, v79 offset:8
	s_waitcnt lgkmcnt(0)
	v_mul_f32_e32 v18, v20, v18
	v_cvt_pk_bf16_f32 v18, v18, s0
.LBB25_108:                             ;   in Loop: Header=BB25_15 Depth=1
	s_or_b64 exec, exec, s[26:27]
	ds_write_b16 v71, v18 offset:64
	v_mov_b32_e32 v18, 0
	v_mov_b32_e32 v86, 0
	s_and_saveexec_b64 s[2:3], s[22:23]
	s_cbranch_execnz .LBB25_138
; %bb.109:                              ;   in Loop: Header=BB25_15 Depth=1
	s_or_b64 exec, exec, s[2:3]
	s_and_saveexec_b64 s[2:3], s[0:1]
	s_cbranch_execnz .LBB25_139
.LBB25_110:                             ;   in Loop: Header=BB25_15 Depth=1
	s_or_b64 exec, exec, s[2:3]
	s_and_saveexec_b64 s[0:1], s[24:25]
.LBB25_111:                             ;   in Loop: Header=BB25_15 Depth=1
	ds_write_b16 v72, v18
.LBB25_112:                             ;   in Loop: Header=BB25_15 Depth=1
	s_or_b64 exec, exec, s[0:1]
	v_mov_b32_e32 v35, v34
	v_mov_b64_e32 v[18:19], v[34:35]
	s_waitcnt lgkmcnt(0)
	s_barrier
	s_and_saveexec_b64 s[0:1], s[38:39]
	s_cbranch_execz .LBB25_119
; %bb.113:                              ;   in Loop: Header=BB25_15 Depth=1
	v_mov_b32_e32 v35, v34
	v_cmp_gt_u32_e32 vcc, s75, v47
	v_mov_b64_e32 v[18:19], v[34:35]
	s_and_saveexec_b64 s[2:3], vcc
	s_cbranch_execnz .LBB25_153
; %bb.114:                              ;   in Loop: Header=BB25_15 Depth=1
	s_or_b64 exec, exec, s[2:3]
	v_cmp_gt_u32_e32 vcc, s76, v49
	s_and_saveexec_b64 s[2:3], vcc
	s_cbranch_execnz .LBB25_154
.LBB25_115:                             ;   in Loop: Header=BB25_15 Depth=1
	s_or_b64 exec, exec, s[2:3]
	v_cmp_gt_u32_e32 vcc, s76, v48
	s_and_saveexec_b64 s[2:3], vcc
	s_cbranch_execnz .LBB25_155
.LBB25_116:                             ;   in Loop: Header=BB25_15 Depth=1
	s_or_b64 exec, exec, s[2:3]
	v_cmp_gt_u32_e32 vcc, s76, v25
	s_and_saveexec_b64 s[2:3], vcc
	s_cbranch_execz .LBB25_118
.LBB25_117:                             ;   in Loop: Header=BB25_15 Depth=1
	ds_read_u16 v20, v74
	s_waitcnt lgkmcnt(0)
	v_perm_b32 v19, v20, v19, s71
.LBB25_118:                             ;   in Loop: Header=BB25_15 Depth=1
	s_or_b64 exec, exec, s[2:3]
.LBB25_119:                             ;   in Loop: Header=BB25_15 Depth=1
	s_or_b64 exec, exec, s[0:1]
	v_mov_b32_e32 v35, v34
	v_cmp_gt_u32_e32 vcc, s75, v47
	v_mov_b64_e32 v[20:21], v[34:35]
	s_and_saveexec_b64 s[0:1], vcc
	s_cbranch_execnz .LBB25_140
; %bb.120:                              ;   in Loop: Header=BB25_15 Depth=1
	s_or_b64 exec, exec, s[0:1]
	v_cmp_gt_u32_e64 s[0:1], s76, v49
	s_and_saveexec_b64 s[2:3], s[0:1]
	s_cbranch_execnz .LBB25_141
.LBB25_121:                             ;   in Loop: Header=BB25_15 Depth=1
	s_or_b64 exec, exec, s[2:3]
	v_cmp_gt_u32_e64 s[2:3], s76, v48
	s_and_saveexec_b64 s[26:27], s[2:3]
	s_cbranch_execnz .LBB25_142
.LBB25_122:                             ;   in Loop: Header=BB25_15 Depth=1
	s_or_b64 exec, exec, s[26:27]
	v_cmp_gt_u32_e64 s[26:27], s76, v25
	s_and_saveexec_b64 s[28:29], s[26:27]
	s_cbranch_execz .LBB25_124
.LBB25_123:                             ;   in Loop: Header=BB25_15 Depth=1
	ds_read_u16 v35, v53
	s_waitcnt lgkmcnt(0)
	v_perm_b32 v21, v35, v21, s71
.LBB25_124:                             ;   in Loop: Header=BB25_15 Depth=1
	s_or_b64 exec, exec, s[28:29]
	v_mov_b32_e32 v35, v34
	v_mov_b64_e32 v[40:41], v[34:35]
	s_and_saveexec_b64 s[28:29], vcc
	s_cbranch_execnz .LBB25_143
; %bb.125:                              ;   in Loop: Header=BB25_15 Depth=1
	s_or_b64 exec, exec, s[28:29]
	s_and_saveexec_b64 s[28:29], s[0:1]
	s_cbranch_execnz .LBB25_144
.LBB25_126:                             ;   in Loop: Header=BB25_15 Depth=1
	s_or_b64 exec, exec, s[28:29]
	s_and_saveexec_b64 s[28:29], s[2:3]
	s_cbranch_execnz .LBB25_145
.LBB25_127:                             ;   in Loop: Header=BB25_15 Depth=1
	s_or_b64 exec, exec, s[28:29]
	s_and_saveexec_b64 s[28:29], s[26:27]
	s_cbranch_execz .LBB25_129
.LBB25_128:                             ;   in Loop: Header=BB25_15 Depth=1
	ds_read_u16 v35, v53 offset:512
	s_waitcnt lgkmcnt(0)
	v_perm_b32 v41, v35, v41, s71
.LBB25_129:                             ;   in Loop: Header=BB25_15 Depth=1
	s_or_b64 exec, exec, s[28:29]
	v_mov_b32_e32 v35, v34
	v_mov_b64_e32 v[42:43], v[34:35]
	s_and_saveexec_b64 s[28:29], vcc
	s_cbranch_execnz .LBB25_146
; %bb.130:                              ;   in Loop: Header=BB25_15 Depth=1
	s_or_b64 exec, exec, s[28:29]
	s_and_saveexec_b64 s[28:29], s[0:1]
	s_cbranch_execnz .LBB25_147
.LBB25_131:                             ;   in Loop: Header=BB25_15 Depth=1
	s_or_b64 exec, exec, s[28:29]
	s_and_saveexec_b64 s[28:29], s[2:3]
	s_cbranch_execnz .LBB25_148
.LBB25_132:                             ;   in Loop: Header=BB25_15 Depth=1
	s_or_b64 exec, exec, s[28:29]
	s_and_saveexec_b64 s[28:29], s[26:27]
	s_cbranch_execz .LBB25_134
.LBB25_133:                             ;   in Loop: Header=BB25_15 Depth=1
	ds_read_u16 v35, v53 offset:1024
	s_waitcnt lgkmcnt(0)
	v_perm_b32 v43, v35, v43, s71
.LBB25_134:                             ;   in Loop: Header=BB25_15 Depth=1
	s_or_b64 exec, exec, s[28:29]
	v_mov_b32_e32 v35, v34
	v_mov_b64_e32 v[44:45], v[34:35]
	s_and_saveexec_b64 s[28:29], vcc
	s_cbranch_execnz .LBB25_149
; %bb.135:                              ;   in Loop: Header=BB25_15 Depth=1
	s_or_b64 exec, exec, s[28:29]
	s_and_saveexec_b64 s[28:29], s[0:1]
	s_cbranch_execnz .LBB25_150
.LBB25_136:                             ;   in Loop: Header=BB25_15 Depth=1
	s_or_b64 exec, exec, s[28:29]
	s_and_saveexec_b64 s[0:1], s[2:3]
	s_cbranch_execnz .LBB25_151
.LBB25_137:                             ;   in Loop: Header=BB25_15 Depth=1
	s_or_b64 exec, exec, s[0:1]
	s_and_saveexec_b64 s[0:1], s[26:27]
	s_cbranch_execz .LBB25_14
	s_branch .LBB25_152
.LBB25_138:                             ;   in Loop: Header=BB25_15 Depth=1
	ds_read_b32 v86, v69
	s_or_b64 exec, exec, s[2:3]
	s_and_saveexec_b64 s[2:3], s[0:1]
	s_cbranch_execz .LBB25_110
.LBB25_139:                             ;   in Loop: Header=BB25_15 Depth=1
	ds_read_b32 v18, v68
	s_waitcnt lgkmcnt(0)
	v_mul_f32_e32 v18, v21, v18
	v_cvt_pk_bf16_f32 v18, v18, s0
	s_or_b64 exec, exec, s[2:3]
	s_and_saveexec_b64 s[0:1], s[24:25]
	s_cbranch_execnz .LBB25_111
	s_branch .LBB25_112
.LBB25_140:                             ;   in Loop: Header=BB25_15 Depth=1
	ds_read_u16 v20, v52
	v_mov_b32_e32 v21, v34
	s_waitcnt lgkmcnt(0)
	v_and_b32_e32 v20, 0xffff, v20
	s_or_b64 exec, exec, s[0:1]
	v_cmp_gt_u32_e64 s[0:1], s76, v49
	s_and_saveexec_b64 s[2:3], s[0:1]
	s_cbranch_execz .LBB25_121
.LBB25_141:                             ;   in Loop: Header=BB25_15 Depth=1
	ds_read_u16 v35, v52 offset:2
	s_waitcnt lgkmcnt(0)
	v_perm_b32 v20, v35, v20, s71
	s_or_b64 exec, exec, s[2:3]
	v_cmp_gt_u32_e64 s[2:3], s76, v48
	s_and_saveexec_b64 s[26:27], s[2:3]
	s_cbranch_execz .LBB25_122
.LBB25_142:                             ;   in Loop: Header=BB25_15 Depth=1
	ds_read_u16 v35, v52 offset:4
	s_waitcnt lgkmcnt(0)
	v_bfi_b32 v21, s73, v35, v21
	s_or_b64 exec, exec, s[26:27]
	v_cmp_gt_u32_e64 s[26:27], s76, v25
	s_and_saveexec_b64 s[28:29], s[26:27]
	s_cbranch_execnz .LBB25_123
	s_branch .LBB25_124
.LBB25_143:                             ;   in Loop: Header=BB25_15 Depth=1
	ds_read_u16 v35, v52 offset:512
	v_mov_b32_e32 v41, v34
	s_waitcnt lgkmcnt(0)
	v_and_b32_e32 v40, 0xffff, v35
	s_or_b64 exec, exec, s[28:29]
	s_and_saveexec_b64 s[28:29], s[0:1]
	s_cbranch_execz .LBB25_126
.LBB25_144:                             ;   in Loop: Header=BB25_15 Depth=1
	ds_read_u16 v35, v52 offset:514
	s_waitcnt lgkmcnt(0)
	v_perm_b32 v40, v35, v40, s71
	s_or_b64 exec, exec, s[28:29]
	s_and_saveexec_b64 s[28:29], s[2:3]
	s_cbranch_execz .LBB25_127
.LBB25_145:                             ;   in Loop: Header=BB25_15 Depth=1
	ds_read_u16 v35, v52 offset:516
	s_waitcnt lgkmcnt(0)
	v_bfi_b32 v41, s73, v35, v41
	s_or_b64 exec, exec, s[28:29]
	s_and_saveexec_b64 s[28:29], s[26:27]
	s_cbranch_execnz .LBB25_128
	s_branch .LBB25_129
.LBB25_146:                             ;   in Loop: Header=BB25_15 Depth=1
	ds_read_u16 v35, v52 offset:1024
	v_mov_b32_e32 v43, v34
	s_waitcnt lgkmcnt(0)
	v_and_b32_e32 v42, 0xffff, v35
	s_or_b64 exec, exec, s[28:29]
	s_and_saveexec_b64 s[28:29], s[0:1]
	s_cbranch_execz .LBB25_131
.LBB25_147:                             ;   in Loop: Header=BB25_15 Depth=1
	ds_read_u16 v35, v52 offset:1026
	s_waitcnt lgkmcnt(0)
	v_perm_b32 v42, v35, v42, s71
	s_or_b64 exec, exec, s[28:29]
	s_and_saveexec_b64 s[28:29], s[2:3]
	s_cbranch_execz .LBB25_132
.LBB25_148:                             ;   in Loop: Header=BB25_15 Depth=1
	ds_read_u16 v35, v52 offset:1028
	s_waitcnt lgkmcnt(0)
	v_bfi_b32 v43, s73, v35, v43
	s_or_b64 exec, exec, s[28:29]
	s_and_saveexec_b64 s[28:29], s[26:27]
	s_cbranch_execnz .LBB25_133
	s_branch .LBB25_134
.LBB25_149:                             ;   in Loop: Header=BB25_15 Depth=1
	ds_read_u16 v35, v54
	v_mov_b32_e32 v45, v34
	s_waitcnt lgkmcnt(0)
	v_and_b32_e32 v44, 0xffff, v35
	s_or_b64 exec, exec, s[28:29]
	s_and_saveexec_b64 s[28:29], s[0:1]
	s_cbranch_execz .LBB25_136
.LBB25_150:                             ;   in Loop: Header=BB25_15 Depth=1
	ds_read_u16 v35, v54 offset:2
	s_waitcnt lgkmcnt(0)
	v_perm_b32 v44, v35, v44, s71
	s_or_b64 exec, exec, s[28:29]
	s_and_saveexec_b64 s[0:1], s[2:3]
	s_cbranch_execz .LBB25_137
.LBB25_151:                             ;   in Loop: Header=BB25_15 Depth=1
	ds_read_u16 v35, v54 offset:4
	s_waitcnt lgkmcnt(0)
	v_bfi_b32 v45, s73, v35, v45
	s_or_b64 exec, exec, s[0:1]
	s_and_saveexec_b64 s[0:1], s[26:27]
	s_cbranch_execz .LBB25_14
.LBB25_152:                             ;   in Loop: Header=BB25_15 Depth=1
	ds_read_u16 v35, v55
	s_waitcnt lgkmcnt(0)
	v_perm_b32 v45, v35, v45, s71
	s_branch .LBB25_14
.LBB25_153:                             ;   in Loop: Header=BB25_15 Depth=1
	ds_read_u16 v18, v73
	v_mov_b32_e32 v19, v34
	s_waitcnt lgkmcnt(0)
	v_and_b32_e32 v18, 0xffff, v18
	s_or_b64 exec, exec, s[2:3]
	v_cmp_gt_u32_e32 vcc, s76, v49
	s_and_saveexec_b64 s[2:3], vcc
	s_cbranch_execz .LBB25_115
.LBB25_154:                             ;   in Loop: Header=BB25_15 Depth=1
	ds_read_u16 v20, v73 offset:2
	s_waitcnt lgkmcnt(0)
	v_perm_b32 v18, v20, v18, s71
	s_or_b64 exec, exec, s[2:3]
	v_cmp_gt_u32_e32 vcc, s76, v48
	s_and_saveexec_b64 s[2:3], vcc
	s_cbranch_execz .LBB25_116
.LBB25_155:                             ;   in Loop: Header=BB25_15 Depth=1
	ds_read_u16 v20, v73 offset:4
	s_waitcnt lgkmcnt(0)
	v_bfi_b32 v19, s73, v20, v19
	s_or_b64 exec, exec, s[2:3]
	v_cmp_gt_u32_e32 vcc, s76, v25
	s_and_saveexec_b64 s[2:3], vcc
	s_cbranch_execnz .LBB25_117
	s_branch .LBB25_118
.LBB25_156:
	v_mov_b32_e32 v14, 0
	v_mov_b32_e32 v15, v14
	;; [unrolled: 1-line block ×4, first 2 shown]
	v_mov_b64_e32 v[2:3], v[14:15]
	v_mov_b64_e32 v[6:7], v[14:15]
	;; [unrolled: 1-line block ×6, first 2 shown]
.LBB25_157:
	s_lshl_b64 s[0:1], s[50:51], 6
	s_waitcnt lgkmcnt(0)
	s_cmp_lg_u64 s[44:45], 0
	s_cbranch_scc0 .LBB25_199
; %bb.158:
	v_cmp_eq_u32_e32 vcc, 0, v46
	s_and_saveexec_b64 s[2:3], vcc
	s_cbranch_execz .LBB25_196
; %bb.159:
	v_cmp_le_u32_e32 vcc, s49, v47
	s_and_saveexec_b64 s[4:5], vcc
	s_xor_b64 s[4:5], exec, s[4:5]
; %bb.160:
	v_mov_b32_e32 v1, 1.0
	ds_write_b32 v24, v1 offset:4928
; %bb.161:
	s_andn2_saveexec_b64 s[4:5], s[4:5]
	s_cbranch_execz .LBB25_167
; %bb.162:
	v_add_u32_e32 v18, s42, v47
	v_ashrrev_i32_e32 v19, 31, v18
	v_lshl_add_u64 v[18:19], v[18:19], 1, s[44:45]
	global_load_ushort v1, v[18:19], off
	s_movk_i32 s6, 0x1f8
	s_waitcnt vmcnt(0)
	v_lshlrev_b32_e32 v1, 16, v1
	v_cmp_class_f32_e64 s[6:7], v1, s6
	s_and_saveexec_b64 s[8:9], s[6:7]
	s_xor_b64 s[6:7], exec, s[8:9]
	s_cbranch_execz .LBB25_164
; %bb.163:
	v_add_u32_e32 v20, 0x1000, v24
	ds_read2_b32 v[18:19], v20 offset0:144 offset1:160
	v_max_f32_e32 v21, v1, v1
	s_mov_b32 s8, 0xff800000
	s_waitcnt lgkmcnt(0)
	v_max_f32_e32 v23, v19, v19
	v_max_f32_e32 v21, v23, v21
	v_sub_f32_e32 v23, v19, v21
	v_sub_f32_e32 v1, v1, v21
	v_mul_f32_e32 v23, 0x3fb8aa3b, v23
	v_exp_f32_e32 v23, v23
	v_mul_f32_e32 v1, 0x3fb8aa3b, v1
	v_exp_f32_e32 v1, v1
	v_cmp_neq_f32_e32 vcc, s8, v19
	s_nop 1
	v_cndmask_b32_e32 v19, 0, v23, vcc
	v_mul_f32_e32 v23, v18, v19
	v_fmac_f32_e32 v1, v18, v19
	v_div_scale_f32 v18, s[8:9], v1, v1, v23
	v_rcp_f32_e32 v19, v18
	v_div_scale_f32 v26, vcc, v23, v1, v23
	v_fma_f32 v27, -v18, v19, 1.0
	v_fmac_f32_e32 v19, v27, v19
	v_mul_f32_e32 v27, v26, v19
	v_fma_f32 v28, -v18, v27, v26
	v_fmac_f32_e32 v27, v28, v19
	v_fma_f32 v18, -v18, v27, v26
	v_div_fmas_f32 v18, v18, v19, v27
	v_div_fixup_f32 v18, v18, v1, v23
	v_cmp_lt_f32_e32 vcc, 0, v1
	s_nop 1
	v_cndmask_b32_e32 v18, 1.0, v18, vcc
	ds_write_b32 v24, v18 offset:4928
	ds_write2_b32 v20, v1, v21 offset0:144 offset1:160
.LBB25_164:
	s_andn2_saveexec_b64 s[6:7], s[6:7]
; %bb.165:
	v_mov_b32_e32 v1, 1.0
	ds_write_b32 v24, v1 offset:4928
; %bb.166:
	s_or_b64 exec, exec, s[6:7]
.LBB25_167:
	s_or_b64 exec, exec, s[4:5]
	v_or_b32_e32 v1, 1, v22
	v_cmp_le_u32_e32 vcc, s33, v1
	s_and_saveexec_b64 s[4:5], vcc
	s_xor_b64 s[4:5], exec, s[4:5]
	s_cbranch_execz .LBB25_171
; %bb.168:
	v_cmp_gt_u32_e32 vcc, 64, v0
	s_and_saveexec_b64 s[6:7], vcc
; %bb.169:
	v_lshlrev_b32_e32 v1, 2, v22
	v_mov_b32_e32 v18, 1.0
	ds_write_b32 v1, v18 offset:4932
; %bb.170:
	s_or_b64 exec, exec, s[6:7]
.LBB25_171:
	s_andn2_saveexec_b64 s[4:5], s[4:5]
	s_cbranch_execz .LBB25_177
; %bb.172:
	s_ashr_i32 s43, s42, 31
	v_mov_b32_e32 v23, 0
	v_lshl_add_u64 v[18:19], v[22:23], 0, s[42:43]
	v_lshl_add_u64 v[18:19], v[18:19], 1, s[44:45]
	global_load_ushort v1, v[18:19], off offset:2
	s_movk_i32 s6, 0x1f8
	s_waitcnt vmcnt(0)
	v_lshlrev_b32_e32 v1, 16, v1
	v_cmp_class_f32_e64 s[6:7], v1, s6
	s_and_saveexec_b64 s[8:9], s[6:7]
	s_xor_b64 s[6:7], exec, s[8:9]
	s_cbranch_execz .LBB25_174
; %bb.173:
	v_lshlrev_b32_e32 v20, 2, v22
	v_add_u32_e32 v21, 0x1000, v20
	ds_read2_b32 v[18:19], v21 offset0:145 offset1:161
	v_max_f32_e32 v23, v1, v1
	s_mov_b32 s8, 0xff800000
	s_waitcnt lgkmcnt(0)
	v_max_f32_e32 v26, v19, v19
	v_max_f32_e32 v23, v26, v23
	v_sub_f32_e32 v26, v19, v23
	v_sub_f32_e32 v1, v1, v23
	v_mul_f32_e32 v26, 0x3fb8aa3b, v26
	v_exp_f32_e32 v26, v26
	v_mul_f32_e32 v1, 0x3fb8aa3b, v1
	v_exp_f32_e32 v1, v1
	v_cmp_neq_f32_e32 vcc, s8, v19
	s_nop 1
	v_cndmask_b32_e32 v19, 0, v26, vcc
	v_mul_f32_e32 v26, v18, v19
	v_fmac_f32_e32 v1, v18, v19
	v_div_scale_f32 v18, s[8:9], v1, v1, v26
	v_rcp_f32_e32 v19, v18
	v_div_scale_f32 v27, vcc, v26, v1, v26
	v_fma_f32 v28, -v18, v19, 1.0
	v_fmac_f32_e32 v19, v28, v19
	v_mul_f32_e32 v28, v27, v19
	v_fma_f32 v29, -v18, v28, v27
	v_fmac_f32_e32 v28, v29, v19
	v_fma_f32 v18, -v18, v28, v27
	v_div_fmas_f32 v18, v18, v19, v28
	v_div_fixup_f32 v18, v18, v1, v26
	v_cmp_lt_f32_e32 vcc, 0, v1
	s_nop 1
	v_cndmask_b32_e32 v18, 1.0, v18, vcc
	ds_write_b32 v20, v18 offset:4932
	ds_write2_b32 v21, v1, v23 offset0:145 offset1:161
.LBB25_174:
	s_andn2_saveexec_b64 s[6:7], s[6:7]
; %bb.175:
	v_lshlrev_b32_e32 v1, 2, v22
	v_mov_b32_e32 v18, 1.0
	ds_write_b32 v1, v18 offset:4932
; %bb.176:
	s_or_b64 exec, exec, s[6:7]
.LBB25_177:
	s_or_b64 exec, exec, s[4:5]
	v_or_b32_e32 v1, 2, v22
	v_cmp_le_u32_e32 vcc, s33, v1
	s_and_saveexec_b64 s[4:5], vcc
	s_xor_b64 s[4:5], exec, s[4:5]
	s_cbranch_execz .LBB25_181
; %bb.178:
	v_cmp_gt_u32_e32 vcc, 64, v0
	s_and_saveexec_b64 s[6:7], vcc
; %bb.179:
	v_lshlrev_b32_e32 v1, 2, v22
	v_mov_b32_e32 v18, 1.0
	ds_write_b32 v1, v18 offset:4936
; %bb.180:
	s_or_b64 exec, exec, s[6:7]
.LBB25_181:
	s_andn2_saveexec_b64 s[4:5], s[4:5]
	s_cbranch_execz .LBB25_187
; %bb.182:
	s_ashr_i32 s43, s42, 31
	v_mov_b32_e32 v23, 0
	v_lshl_add_u64 v[18:19], v[22:23], 0, s[42:43]
	v_lshl_add_u64 v[18:19], v[18:19], 1, s[44:45]
	global_load_ushort v1, v[18:19], off offset:4
	s_movk_i32 s6, 0x1f8
	s_waitcnt vmcnt(0)
	v_lshlrev_b32_e32 v1, 16, v1
	v_cmp_class_f32_e64 s[6:7], v1, s6
	s_and_saveexec_b64 s[8:9], s[6:7]
	s_xor_b64 s[6:7], exec, s[8:9]
	s_cbranch_execz .LBB25_184
; %bb.183:
	v_lshlrev_b32_e32 v20, 2, v22
	v_add_u32_e32 v21, 0x1000, v20
	ds_read2_b32 v[18:19], v21 offset0:146 offset1:162
	v_max_f32_e32 v23, v1, v1
	s_mov_b32 s8, 0xff800000
	s_waitcnt lgkmcnt(0)
	v_max_f32_e32 v26, v19, v19
	v_max_f32_e32 v23, v26, v23
	v_sub_f32_e32 v26, v19, v23
	v_sub_f32_e32 v1, v1, v23
	v_mul_f32_e32 v26, 0x3fb8aa3b, v26
	v_exp_f32_e32 v26, v26
	v_mul_f32_e32 v1, 0x3fb8aa3b, v1
	v_exp_f32_e32 v1, v1
	v_cmp_neq_f32_e32 vcc, s8, v19
	s_nop 1
	v_cndmask_b32_e32 v19, 0, v26, vcc
	v_mul_f32_e32 v26, v18, v19
	v_fmac_f32_e32 v1, v18, v19
	v_div_scale_f32 v18, s[8:9], v1, v1, v26
	v_rcp_f32_e32 v19, v18
	v_div_scale_f32 v27, vcc, v26, v1, v26
	v_fma_f32 v28, -v18, v19, 1.0
	v_fmac_f32_e32 v19, v28, v19
	v_mul_f32_e32 v28, v27, v19
	v_fma_f32 v29, -v18, v28, v27
	v_fmac_f32_e32 v28, v29, v19
	v_fma_f32 v18, -v18, v28, v27
	v_div_fmas_f32 v18, v18, v19, v28
	v_div_fixup_f32 v18, v18, v1, v26
	v_cmp_lt_f32_e32 vcc, 0, v1
	s_nop 1
	v_cndmask_b32_e32 v18, 1.0, v18, vcc
	ds_write_b32 v20, v18 offset:4936
	ds_write2_b32 v21, v1, v23 offset0:146 offset1:162
.LBB25_184:
	s_andn2_saveexec_b64 s[6:7], s[6:7]
; %bb.185:
	v_lshlrev_b32_e32 v1, 2, v22
	v_mov_b32_e32 v18, 1.0
	ds_write_b32 v1, v18 offset:4936
; %bb.186:
	s_or_b64 exec, exec, s[6:7]
.LBB25_187:
	s_or_b64 exec, exec, s[4:5]
	v_cmp_le_u32_e32 vcc, s33, v25
	s_and_saveexec_b64 s[4:5], vcc
	s_xor_b64 s[4:5], exec, s[4:5]
	s_cbranch_execz .LBB25_191
; %bb.188:
	v_cmp_gt_u32_e32 vcc, 64, v0
	s_and_saveexec_b64 s[6:7], vcc
; %bb.189:
	v_lshlrev_b32_e32 v1, 2, v22
	v_mov_b32_e32 v18, 1.0
	ds_write_b32 v1, v18 offset:4940
; %bb.190:
	s_or_b64 exec, exec, s[6:7]
.LBB25_191:
	s_andn2_saveexec_b64 s[4:5], s[4:5]
	s_cbranch_execz .LBB25_196
; %bb.192:
	s_ashr_i32 s43, s42, 31
	v_mov_b32_e32 v23, 0
	v_lshl_add_u64 v[18:19], v[22:23], 0, s[42:43]
	v_lshl_add_u64 v[18:19], v[18:19], 1, s[44:45]
	global_load_ushort v1, v[18:19], off offset:6
	s_movk_i32 s4, 0x1f8
	s_waitcnt vmcnt(0)
	v_lshlrev_b32_e32 v18, 16, v1
	v_cmp_class_f32_e64 s[4:5], v18, s4
	v_lshlrev_b32_e32 v1, 2, v22
	s_and_saveexec_b64 s[6:7], s[4:5]
	s_xor_b64 s[4:5], exec, s[6:7]
	s_cbranch_execz .LBB25_194
; %bb.193:
	v_add_u32_e32 v19, 0x1000, v1
	ds_read2_b32 v[20:21], v19 offset0:147 offset1:163
	v_max_f32_e32 v23, v18, v18
	s_mov_b32 s6, 0xff800000
	s_waitcnt lgkmcnt(0)
	v_max_f32_e32 v26, v21, v21
	v_max_f32_e32 v23, v26, v23
	v_sub_f32_e32 v26, v21, v23
	v_sub_f32_e32 v18, v18, v23
	v_mul_f32_e32 v26, 0x3fb8aa3b, v26
	v_exp_f32_e32 v26, v26
	v_mul_f32_e32 v18, 0x3fb8aa3b, v18
	v_exp_f32_e32 v18, v18
	v_cmp_neq_f32_e32 vcc, s6, v21
	s_nop 1
	v_cndmask_b32_e32 v21, 0, v26, vcc
	v_mul_f32_e32 v26, v20, v21
	v_fmac_f32_e32 v18, v20, v21
	v_div_scale_f32 v20, s[6:7], v18, v18, v26
	v_rcp_f32_e32 v21, v20
	v_div_scale_f32 v27, vcc, v26, v18, v26
	v_fma_f32 v28, -v20, v21, 1.0
	v_fmac_f32_e32 v21, v28, v21
	v_mul_f32_e32 v28, v27, v21
	v_fma_f32 v29, -v20, v28, v27
	v_fmac_f32_e32 v28, v29, v21
	v_fma_f32 v20, -v20, v28, v27
	v_div_fmas_f32 v20, v20, v21, v28
	v_div_fixup_f32 v20, v20, v18, v26
	v_cmp_lt_f32_e32 vcc, 0, v18
	s_nop 1
	v_cndmask_b32_e32 v20, 1.0, v20, vcc
	ds_write_b32 v1, v20 offset:4940
	ds_write2_b32 v19, v18, v23 offset0:147 offset1:163
                                        ; implicit-def: $vgpr1
.LBB25_194:
	s_andn2_saveexec_b64 s[4:5], s[4:5]
; %bb.195:
	v_mov_b32_e32 v18, 1.0
	ds_write_b32 v1, v18 offset:4940
.LBB25_196:
	s_or_b64 exec, exec, s[2:3]
	s_waitcnt lgkmcnt(0)
	s_barrier
	ds_read_b96 v[18:20], v24 offset:4928
	v_cmp_gt_u32_e32 vcc, 64, v0
	v_mov_b32_e32 v1, 1.0
	s_and_saveexec_b64 s[2:3], vcc
; %bb.197:
	v_lshl_or_b32 v1, v22, 2, 12
	ds_read_b32 v1, v1 offset:4928
; %bb.198:
	s_or_b64 exec, exec, s[2:3]
	s_waitcnt lgkmcnt(0)
	v_pk_mul_f32 v[10:11], v[10:11], v[18:19]
	v_pk_mul_f32 v[14:15], v[14:15], v[18:19]
	;; [unrolled: 1-line block ×4, first 2 shown]
	v_mul_f32_e32 v16, v16, v20
	v_mul_f32_e32 v4, v4, v20
	;; [unrolled: 1-line block ×8, first 2 shown]
.LBB25_199:
	s_lshl_b64 s[0:1], s[0:1], 2
	s_add_u32 s0, s46, s0
	v_or_b32_e32 v18, 48, v0
	s_addc_u32 s1, s47, s1
	v_mov_b32_e32 v1, 0
	v_cmp_gt_u32_e32 vcc, s49, v47
	v_lshlrev_b32_e32 v0, 2, v46
	v_lshlrev_b32_e32 v18, 2, v18
	s_and_saveexec_b64 s[2:3], vcc
	s_cbranch_execnz .LBB25_205
; %bb.200:
	s_or_b64 exec, exec, s[2:3]
	v_cmp_gt_u32_e32 vcc, s33, v49
	s_and_saveexec_b64 s[2:3], vcc
	s_cbranch_execnz .LBB25_206
.LBB25_201:
	s_or_b64 exec, exec, s[2:3]
	v_cmp_gt_u32_e32 vcc, s33, v48
	s_and_saveexec_b64 s[2:3], vcc
	s_cbranch_execnz .LBB25_207
.LBB25_202:
	s_or_b64 exec, exec, s[2:3]
	v_cmp_gt_u32_e32 vcc, s33, v25
	s_and_b64 exec, exec, vcc
	s_cbranch_execz .LBB25_204
.LBB25_203:
	v_add_u32_e32 v2, s42, v25
	v_ashrrev_i32_e32 v3, 31, v2
	v_lshlrev_b64 v[2:3], 8, v[2:3]
	v_mov_b32_e32 v1, 0
	v_lshl_add_u64 v[2:3], s[0:1], 0, v[2:3]
	v_mov_b32_e32 v19, v1
	v_lshl_add_u64 v[6:7], v[2:3], 0, v[0:1]
	v_lshl_add_u64 v[0:1], v[2:3], 0, v[18:19]
	global_store_dword v[6:7], v17, off
	global_store_dword v[6:7], v5, off offset:64
	global_store_dword v[6:7], v9, off offset:128
	global_store_dword v[0:1], v13, off
.LBB25_204:
	s_endpgm
.LBB25_205:
	v_add_u32_e32 v20, s42, v47
	v_ashrrev_i32_e32 v21, 31, v20
	v_lshlrev_b64 v[20:21], 8, v[20:21]
	v_lshl_add_u64 v[20:21], s[0:1], 0, v[20:21]
	v_mov_b32_e32 v19, v1
	v_lshl_add_u64 v[22:23], v[20:21], 0, v[0:1]
	v_lshl_add_u64 v[20:21], v[20:21], 0, v[18:19]
	global_store_dword v[22:23], v14, off
	global_store_dword v[22:23], v2, off offset:64
	global_store_dword v[22:23], v6, off offset:128
	global_store_dword v[20:21], v10, off
	s_or_b64 exec, exec, s[2:3]
	v_cmp_gt_u32_e32 vcc, s33, v49
	s_and_saveexec_b64 s[2:3], vcc
	s_cbranch_execz .LBB25_201
.LBB25_206:
	v_add_u32_e32 v20, s42, v49
	v_ashrrev_i32_e32 v21, 31, v20
	v_lshlrev_b64 v[20:21], 8, v[20:21]
	v_lshl_add_u64 v[20:21], s[0:1], 0, v[20:21]
	v_mov_b32_e32 v1, 0
	v_lshl_add_u64 v[22:23], v[20:21], 0, v[0:1]
	v_mov_b32_e32 v19, v1
	global_store_dword v[22:23], v15, off
	global_store_dword v[22:23], v3, off offset:64
	global_store_dword v[22:23], v7, off offset:128
	v_lshl_add_u64 v[2:3], v[20:21], 0, v[18:19]
	global_store_dword v[2:3], v11, off
	s_or_b64 exec, exec, s[2:3]
	v_cmp_gt_u32_e32 vcc, s33, v48
	s_and_saveexec_b64 s[2:3], vcc
	s_cbranch_execz .LBB25_202
.LBB25_207:
	v_add_u32_e32 v2, s42, v48
	v_ashrrev_i32_e32 v3, 31, v2
	v_lshlrev_b64 v[2:3], 8, v[2:3]
	v_mov_b32_e32 v1, 0
	v_lshl_add_u64 v[2:3], s[0:1], 0, v[2:3]
	v_mov_b32_e32 v19, v1
	v_lshl_add_u64 v[6:7], v[2:3], 0, v[0:1]
	v_lshl_add_u64 v[2:3], v[2:3], 0, v[18:19]
	global_store_dword v[6:7], v16, off
	global_store_dword v[6:7], v4, off offset:64
	global_store_dword v[6:7], v8, off offset:128
	global_store_dword v[2:3], v12, off
	s_or_b64 exec, exec, s[2:3]
	v_cmp_gt_u32_e32 vcc, s33, v25
	s_and_b64 exec, exec, vcc
	s_cbranch_execnz .LBB25_203
	s_branch .LBB25_204
	.section	.rodata,"a",@progbits
	.p2align	6, 0x0
	.amdhsa_kernel _Z22fa2_decode_mfma_head64IfLb0ELi16ELi16EEvPKfPKvS3_S1_PK14__hip_bfloat16PfiiiiiiiiPKiS9_xPKxS9_S9_i
		.amdhsa_group_segment_fixed_size 4992
		.amdhsa_private_segment_fixed_size 0
		.amdhsa_kernarg_size 132
		.amdhsa_user_sgpr_count 2
		.amdhsa_user_sgpr_dispatch_ptr 0
		.amdhsa_user_sgpr_queue_ptr 0
		.amdhsa_user_sgpr_kernarg_segment_ptr 1
		.amdhsa_user_sgpr_dispatch_id 0
		.amdhsa_user_sgpr_kernarg_preload_length 0
		.amdhsa_user_sgpr_kernarg_preload_offset 0
		.amdhsa_user_sgpr_private_segment_size 0
		.amdhsa_uses_dynamic_stack 0
		.amdhsa_enable_private_segment 0
		.amdhsa_system_sgpr_workgroup_id_x 1
		.amdhsa_system_sgpr_workgroup_id_y 1
		.amdhsa_system_sgpr_workgroup_id_z 0
		.amdhsa_system_sgpr_workgroup_info 0
		.amdhsa_system_vgpr_workitem_id 0
		.amdhsa_next_free_vgpr 94
		.amdhsa_next_free_sgpr 77
		.amdhsa_accum_offset 96
		.amdhsa_reserve_vcc 1
		.amdhsa_float_round_mode_32 0
		.amdhsa_float_round_mode_16_64 0
		.amdhsa_float_denorm_mode_32 3
		.amdhsa_float_denorm_mode_16_64 3
		.amdhsa_dx10_clamp 1
		.amdhsa_ieee_mode 1
		.amdhsa_fp16_overflow 0
		.amdhsa_tg_split 0
		.amdhsa_exception_fp_ieee_invalid_op 0
		.amdhsa_exception_fp_denorm_src 0
		.amdhsa_exception_fp_ieee_div_zero 0
		.amdhsa_exception_fp_ieee_overflow 0
		.amdhsa_exception_fp_ieee_underflow 0
		.amdhsa_exception_fp_ieee_inexact 0
		.amdhsa_exception_int_div_zero 0
	.end_amdhsa_kernel
	.section	.text._Z22fa2_decode_mfma_head64IfLb0ELi16ELi16EEvPKfPKvS3_S1_PK14__hip_bfloat16PfiiiiiiiiPKiS9_xPKxS9_S9_i,"axG",@progbits,_Z22fa2_decode_mfma_head64IfLb0ELi16ELi16EEvPKfPKvS3_S1_PK14__hip_bfloat16PfiiiiiiiiPKiS9_xPKxS9_S9_i,comdat
.Lfunc_end25:
	.size	_Z22fa2_decode_mfma_head64IfLb0ELi16ELi16EEvPKfPKvS3_S1_PK14__hip_bfloat16PfiiiiiiiiPKiS9_xPKxS9_S9_i, .Lfunc_end25-_Z22fa2_decode_mfma_head64IfLb0ELi16ELi16EEvPKfPKvS3_S1_PK14__hip_bfloat16PfiiiiiiiiPKiS9_xPKxS9_S9_i
                                        ; -- End function
	.set _Z22fa2_decode_mfma_head64IfLb0ELi16ELi16EEvPKfPKvS3_S1_PK14__hip_bfloat16PfiiiiiiiiPKiS9_xPKxS9_S9_i.num_vgpr, 94
	.set _Z22fa2_decode_mfma_head64IfLb0ELi16ELi16EEvPKfPKvS3_S1_PK14__hip_bfloat16PfiiiiiiiiPKiS9_xPKxS9_S9_i.num_agpr, 0
	.set _Z22fa2_decode_mfma_head64IfLb0ELi16ELi16EEvPKfPKvS3_S1_PK14__hip_bfloat16PfiiiiiiiiPKiS9_xPKxS9_S9_i.numbered_sgpr, 77
	.set _Z22fa2_decode_mfma_head64IfLb0ELi16ELi16EEvPKfPKvS3_S1_PK14__hip_bfloat16PfiiiiiiiiPKiS9_xPKxS9_S9_i.num_named_barrier, 0
	.set _Z22fa2_decode_mfma_head64IfLb0ELi16ELi16EEvPKfPKvS3_S1_PK14__hip_bfloat16PfiiiiiiiiPKiS9_xPKxS9_S9_i.private_seg_size, 0
	.set _Z22fa2_decode_mfma_head64IfLb0ELi16ELi16EEvPKfPKvS3_S1_PK14__hip_bfloat16PfiiiiiiiiPKiS9_xPKxS9_S9_i.uses_vcc, 1
	.set _Z22fa2_decode_mfma_head64IfLb0ELi16ELi16EEvPKfPKvS3_S1_PK14__hip_bfloat16PfiiiiiiiiPKiS9_xPKxS9_S9_i.uses_flat_scratch, 0
	.set _Z22fa2_decode_mfma_head64IfLb0ELi16ELi16EEvPKfPKvS3_S1_PK14__hip_bfloat16PfiiiiiiiiPKiS9_xPKxS9_S9_i.has_dyn_sized_stack, 0
	.set _Z22fa2_decode_mfma_head64IfLb0ELi16ELi16EEvPKfPKvS3_S1_PK14__hip_bfloat16PfiiiiiiiiPKiS9_xPKxS9_S9_i.has_recursion, 0
	.set _Z22fa2_decode_mfma_head64IfLb0ELi16ELi16EEvPKfPKvS3_S1_PK14__hip_bfloat16PfiiiiiiiiPKiS9_xPKxS9_S9_i.has_indirect_call, 0
	.section	.AMDGPU.csdata,"",@progbits
; Kernel info:
; codeLenInByte = 9408
; TotalNumSgprs: 83
; NumVgprs: 94
; NumAgprs: 0
; TotalNumVgprs: 94
; ScratchSize: 0
; MemoryBound: 0
; FloatMode: 240
; IeeeMode: 1
; LDSByteSize: 4992 bytes/workgroup (compile time only)
; SGPRBlocks: 10
; VGPRBlocks: 11
; NumSGPRsForWavesPerEU: 83
; NumVGPRsForWavesPerEU: 94
; AccumOffset: 96
; Occupancy: 5
; WaveLimiterHint : 1
; COMPUTE_PGM_RSRC2:SCRATCH_EN: 0
; COMPUTE_PGM_RSRC2:USER_SGPR: 2
; COMPUTE_PGM_RSRC2:TRAP_HANDLER: 0
; COMPUTE_PGM_RSRC2:TGID_X_EN: 1
; COMPUTE_PGM_RSRC2:TGID_Y_EN: 1
; COMPUTE_PGM_RSRC2:TGID_Z_EN: 0
; COMPUTE_PGM_RSRC2:TIDIG_COMP_CNT: 0
; COMPUTE_PGM_RSRC3_GFX90A:ACCUM_OFFSET: 23
; COMPUTE_PGM_RSRC3_GFX90A:TG_SPLIT: 0
	.section	.text._Z16embed_kernel_vecILi8EEvPK14__hip_bfloat16PKiPfii,"axG",@progbits,_Z16embed_kernel_vecILi8EEvPK14__hip_bfloat16PKiPfii,comdat
	.protected	_Z16embed_kernel_vecILi8EEvPK14__hip_bfloat16PKiPfii ; -- Begin function _Z16embed_kernel_vecILi8EEvPK14__hip_bfloat16PKiPfii
	.globl	_Z16embed_kernel_vecILi8EEvPK14__hip_bfloat16PKiPfii
	.p2align	8
	.type	_Z16embed_kernel_vecILi8EEvPK14__hip_bfloat16PKiPfii,@function
_Z16embed_kernel_vecILi8EEvPK14__hip_bfloat16PKiPfii: ; @_Z16embed_kernel_vecILi8EEvPK14__hip_bfloat16PKiPfii
; %bb.0:
	s_mov_b32 s10, s3
	s_load_dword s3, s[0:1], 0x2c
	s_load_dwordx2 s[8:9], s[0:1], 0x18
	s_waitcnt lgkmcnt(0)
	s_and_b32 s3, s3, 0xffff
	s_mul_i32 s2, s2, s3
	v_add_lshl_u32 v0, s2, v0, 3
	s_cmp_lt_i32 s10, s8
	s_cselect_b64 s[2:3], -1, 0
	v_cmp_gt_i32_e32 vcc, s9, v0
	s_and_b64 s[2:3], s[2:3], vcc
	s_and_saveexec_b64 s[4:5], s[2:3]
	s_cbranch_execz .LBB26_21
; %bb.1:
	s_load_dwordx4 s[4:7], s[0:1], 0x0
	s_load_dwordx2 s[2:3], s[0:1], 0x10
	s_ashr_i32 s11, s10, 31
	s_lshl_b64 s[0:1], s[10:11], 2
	s_mul_hi_i32 s11, s9, s10
	s_waitcnt lgkmcnt(0)
	s_add_u32 s0, s6, s0
	s_addc_u32 s1, s7, s1
	s_load_dword s0, s[0:1], 0x0
	s_mul_i32 s10, s9, s10
	v_ashrrev_i32_e32 v1, 31, v0
	v_sub_u32_e32 v6, s9, v0
	v_min_i32_e32 v10, 8, v6
	s_waitcnt lgkmcnt(0)
	s_mul_hi_i32 s7, s0, s9
	s_mul_i32 s6, s0, s9
	s_lshl_b64 s[0:1], s[6:7], 1
	s_add_u32 s0, s4, s0
	s_addc_u32 s1, s5, s1
	s_lshl_b64 s[12:13], s[10:11], 2
	v_lshl_add_u64 v[2:3], v[0:1], 1, s[0:1]
	s_add_u32 s0, s2, s12
	s_addc_u32 s1, s3, s13
	v_lshl_add_u64 v[4:5], v[0:1], 2, s[0:1]
	v_cmp_lt_i32_e32 vcc, 1, v6
	s_and_saveexec_b64 s[0:1], vcc
	s_cbranch_execz .LBB26_19
; %bb.2:
	v_lshrrev_b32_e32 v11, 1, v10
	v_max_u32_e32 v12, 1, v11
	v_cmp_lt_i32_e32 vcc, 3, v6
	s_mov_b64 s[14:15], -1
	v_mov_b32_e32 v13, 0
	s_and_saveexec_b64 s[12:13], vcc
	s_cbranch_execz .LBB26_11
; %bb.3:
	v_and_b32_e32 v13, 6, v12
	v_add_u32_e32 v6, -2, v13
	v_lshrrev_b32_e32 v7, 1, v6
	s_mov_b32 s18, 1
	v_add_u32_e32 v8, 1, v7
	v_cmp_lt_u32_e32 vcc, 5, v6
	s_mov_b32 s15, 0
	v_mov_b32_e32 v6, 0
	v_mov_b32_e32 v7, 1
	s_and_saveexec_b64 s[16:17], vcc
	s_cbranch_execz .LBB26_7
; %bb.4:
	v_and_b32_e32 v9, -4, v8
	s_mov_b64 s[20:21], 0
	s_mov_b32 s14, s15
.LBB26_5:                               ; =>This Inner Loop Header: Depth=1
	s_mov_b32 s19, s15
	s_add_i32 s22, s18, 2
	s_add_i32 s24, s14, 2
	s_mov_b32 s25, s15
	s_mov_b32 s23, s15
	s_add_i32 s26, s18, 4
	s_add_i32 s28, s14, 4
	s_mov_b32 s29, s15
	;; [unrolled: 4-line block ×3, first 2 shown]
	s_mov_b32 s31, s15
	v_lshl_add_u64 v[14:15], s[18:19], 2, v[2:3]
	v_lshl_add_u64 v[6:7], s[14:15], 2, v[2:3]
	;; [unrolled: 1-line block ×8, first 2 shown]
	global_load_dword v31, v[14:15], off
	global_load_dword v45, v[24:25], off
	;; [unrolled: 1-line block ×8, first 2 shown]
	v_add_u32_e32 v9, -4, v9
	s_add_i32 s37, s18, 8
	s_add_i32 s36, s14, 8
	v_cmp_eq_u32_e32 vcc, 0, v9
	v_lshl_add_u64 v[14:15], s[14:15], 3, v[4:5]
	v_lshl_add_u64 v[16:17], s[18:19], 3, v[4:5]
	v_mov_b64_e32 v[6:7], s[36:37]
	s_mov_b32 s14, s36
	s_mov_b32 s18, s37
	s_or_b64 s[20:21], vcc, s[20:21]
	v_lshl_add_u64 v[18:19], s[24:25], 3, v[4:5]
	v_lshl_add_u64 v[20:21], s[22:23], 3, v[4:5]
	;; [unrolled: 1-line block ×6, first 2 shown]
	s_waitcnt vmcnt(7)
	v_lshlrev_b32_e32 v30, 16, v31
	v_and_b32_e32 v31, 0xffff0000, v31
	s_waitcnt vmcnt(5)
	v_lshlrev_b32_e32 v40, 16, v41
	s_waitcnt vmcnt(4)
	v_lshlrev_b32_e32 v36, 16, v37
	;; [unrolled: 2-line block ×3, first 2 shown]
	v_and_b32_e32 v33, 0xffff0000, v33
	s_waitcnt vmcnt(2)
	v_lshlrev_b32_e32 v34, 16, v35
	v_and_b32_e32 v35, 0xffff0000, v35
	v_and_b32_e32 v37, 0xffff0000, v37
	s_waitcnt vmcnt(1)
	v_lshlrev_b32_e32 v38, 16, v39
	v_and_b32_e32 v39, 0xffff0000, v39
	v_and_b32_e32 v41, 0xffff0000, v41
	s_waitcnt vmcnt(0)
	v_lshlrev_b32_e32 v42, 16, v43
	v_lshlrev_b32_e32 v44, 16, v45
	v_and_b32_e32 v43, 0xffff0000, v43
	v_and_b32_e32 v45, 0xffff0000, v45
	global_store_dwordx2 v[14:15], v[32:33], off
	global_store_dwordx2 v[16:17], v[30:31], off
	;; [unrolled: 1-line block ×8, first 2 shown]
	s_andn2_b64 exec, exec, s[20:21]
	s_cbranch_execnz .LBB26_5
; %bb.6:
	s_or_b64 exec, exec, s[20:21]
.LBB26_7:
	s_or_b64 exec, exec, s[16:17]
	v_and_b32_e32 v14, 3, v8
	v_cmp_ne_u32_e32 vcc, 0, v14
	s_and_saveexec_b64 s[14:15], vcc
	s_cbranch_execz .LBB26_10
; %bb.8:
	s_mov_b64 s[16:17], 0
	v_mov_b32_e32 v9, 0
.LBB26_9:                               ; =>This Inner Loop Header: Depth=1
	v_mov_b32_e32 v16, v7
	v_mov_b32_e32 v17, v9
	;; [unrolled: 1-line block ×3, first 2 shown]
	v_lshl_add_u64 v[20:21], v[16:17], 2, v[2:3]
	v_lshl_add_u64 v[18:19], v[8:9], 2, v[2:3]
	global_load_dword v15, v[20:21], off
	global_load_dword v23, v[18:19], off
	v_add_u32_e32 v14, -1, v14
	v_cmp_eq_u32_e32 vcc, 0, v14
	v_add_u32_e32 v7, 2, v7
	v_add_u32_e32 v6, 2, v6
	v_lshl_add_u64 v[18:19], v[8:9], 3, v[4:5]
	s_or_b64 s[16:17], vcc, s[16:17]
	v_lshl_add_u64 v[16:17], v[16:17], 3, v[4:5]
	s_waitcnt vmcnt(1)
	v_lshlrev_b32_e32 v20, 16, v15
	s_waitcnt vmcnt(0)
	v_lshlrev_b32_e32 v22, 16, v23
	v_and_b32_e32 v23, 0xffff0000, v23
	v_and_b32_e32 v21, 0xffff0000, v15
	global_store_dwordx2 v[18:19], v[22:23], off
	global_store_dwordx2 v[16:17], v[20:21], off
	s_andn2_b64 exec, exec, s[16:17]
	s_cbranch_execnz .LBB26_9
.LBB26_10:
	s_or_b64 exec, exec, s[14:15]
	v_cmp_ne_u32_e32 vcc, v11, v13
	s_orn2_b64 s[14:15], vcc, exec
.LBB26_11:
	s_or_b64 exec, exec, s[12:13]
	s_and_b64 exec, exec, s[14:15]
	s_cbranch_execz .LBB26_19
; %bb.12:
	v_sub_u32_e32 v6, v12, v13
	v_and_b32_e32 v15, 3, v6
	v_cmp_ne_u32_e32 vcc, 0, v15
	v_mov_b32_e32 v14, v13
	s_and_saveexec_b64 s[12:13], vcc
	s_cbranch_execz .LBB26_16
; %bb.13:
	v_lshlrev_b32_e32 v8, 3, v13
	v_mov_b32_e32 v9, 0
	v_lshl_add_u64 v[6:7], s[10:11], 2, v[8:9]
	v_lshlrev_b32_e32 v8, 2, v13
	v_lshl_add_u64 v[8:9], s[6:7], 1, v[8:9]
	v_lshl_add_u64 v[6:7], v[0:1], 2, v[6:7]
	;; [unrolled: 1-line block ×5, first 2 shown]
	v_add_u32_e32 v14, v13, v15
	s_mov_b64 s[14:15], 0
.LBB26_14:                              ; =>This Inner Loop Header: Depth=1
	global_load_dword v16, v[8:9], off
	v_add_u32_e32 v15, -1, v15
	v_cmp_eq_u32_e32 vcc, 0, v15
	v_lshl_add_u64 v[8:9], v[8:9], 0, 4
	s_or_b64 s[14:15], vcc, s[14:15]
	s_waitcnt vmcnt(0)
	v_and_b32_e32 v17, 0xffff0000, v16
	v_lshlrev_b32_e32 v16, 16, v16
	global_store_dwordx2 v[6:7], v[16:17], off
	v_lshl_add_u64 v[6:7], v[6:7], 0, 8
	s_andn2_b64 exec, exec, s[14:15]
	s_cbranch_execnz .LBB26_14
; %bb.15:
	s_or_b64 exec, exec, s[14:15]
.LBB26_16:
	s_or_b64 exec, exec, s[12:13]
	v_sub_u32_e32 v6, v13, v12
	v_cmp_gt_u32_e32 vcc, -3, v6
	s_and_b64 exec, exec, vcc
	s_cbranch_execz .LBB26_19
; %bb.17:
	v_lshlrev_b32_e32 v8, 3, v14
	v_mov_b32_e32 v9, 0
	v_lshl_add_u64 v[6:7], s[10:11], 2, v[8:9]
	v_lshlrev_b32_e32 v8, 2, v14
	v_lshl_add_u64 v[8:9], s[6:7], 1, v[8:9]
	v_lshl_add_u64 v[6:7], v[0:1], 2, v[6:7]
	;; [unrolled: 1-line block ×5, first 2 shown]
	v_sub_u32_e32 v11, v14, v11
	v_lshl_add_u64 v[6:7], v[6:7], 0, 16
	v_lshl_add_u64 v[8:9], v[8:9], 0, 8
	s_mov_b64 s[2:3], 0
.LBB26_18:                              ; =>This Inner Loop Header: Depth=1
	global_load_dwordx4 v[12:15], v[8:9], off offset:-8
	v_add_u32_e32 v11, 4, v11
	v_cmp_eq_u32_e32 vcc, 0, v11
	v_lshl_add_u64 v[8:9], v[8:9], 0, 16
	s_or_b64 s[2:3], vcc, s[2:3]
	s_waitcnt vmcnt(0)
	v_and_b32_e32 v17, 0xffff0000, v12
	v_lshlrev_b32_e32 v16, 16, v12
	v_and_b32_e32 v19, 0xffff0000, v13
	v_lshlrev_b32_e32 v18, 16, v13
	;; [unrolled: 2-line block ×4, first 2 shown]
	global_store_dwordx4 v[6:7], v[16:19], off offset:-16
	global_store_dwordx4 v[6:7], v[20:23], off
	v_lshl_add_u64 v[6:7], v[6:7], 0, 32
	s_andn2_b64 exec, exec, s[2:3]
	s_cbranch_execnz .LBB26_18
.LBB26_19:
	s_or_b64 exec, exec, s[0:1]
	v_and_b32_e32 v6, -2, v10
	v_add_u32_e32 v0, v6, v0
	v_cmp_gt_i32_e32 vcc, 8, v6
	v_cmp_gt_i32_e64 s[0:1], s9, v0
	s_and_b64 s[0:1], vcc, s[0:1]
	s_and_b64 exec, exec, s[0:1]
	s_cbranch_execz .LBB26_21
; %bb.20:
	v_ashrrev_i32_e32 v7, 31, v6
	v_lshl_add_u64 v[0:1], v[6:7], 1, v[2:3]
	global_load_ushort v2, v[0:1], off
	v_lshl_add_u64 v[0:1], v[6:7], 2, v[4:5]
	s_waitcnt vmcnt(0)
	v_lshlrev_b32_e32 v2, 16, v2
	global_store_dword v[0:1], v2, off
.LBB26_21:
	s_endpgm
	.section	.rodata,"a",@progbits
	.p2align	6, 0x0
	.amdhsa_kernel _Z16embed_kernel_vecILi8EEvPK14__hip_bfloat16PKiPfii
		.amdhsa_group_segment_fixed_size 0
		.amdhsa_private_segment_fixed_size 0
		.amdhsa_kernarg_size 288
		.amdhsa_user_sgpr_count 2
		.amdhsa_user_sgpr_dispatch_ptr 0
		.amdhsa_user_sgpr_queue_ptr 0
		.amdhsa_user_sgpr_kernarg_segment_ptr 1
		.amdhsa_user_sgpr_dispatch_id 0
		.amdhsa_user_sgpr_kernarg_preload_length 0
		.amdhsa_user_sgpr_kernarg_preload_offset 0
		.amdhsa_user_sgpr_private_segment_size 0
		.amdhsa_uses_dynamic_stack 0
		.amdhsa_enable_private_segment 0
		.amdhsa_system_sgpr_workgroup_id_x 1
		.amdhsa_system_sgpr_workgroup_id_y 1
		.amdhsa_system_sgpr_workgroup_id_z 0
		.amdhsa_system_sgpr_workgroup_info 0
		.amdhsa_system_vgpr_workitem_id 0
		.amdhsa_next_free_vgpr 46
		.amdhsa_next_free_sgpr 38
		.amdhsa_accum_offset 48
		.amdhsa_reserve_vcc 1
		.amdhsa_float_round_mode_32 0
		.amdhsa_float_round_mode_16_64 0
		.amdhsa_float_denorm_mode_32 3
		.amdhsa_float_denorm_mode_16_64 3
		.amdhsa_dx10_clamp 1
		.amdhsa_ieee_mode 1
		.amdhsa_fp16_overflow 0
		.amdhsa_tg_split 0
		.amdhsa_exception_fp_ieee_invalid_op 0
		.amdhsa_exception_fp_denorm_src 0
		.amdhsa_exception_fp_ieee_div_zero 0
		.amdhsa_exception_fp_ieee_overflow 0
		.amdhsa_exception_fp_ieee_underflow 0
		.amdhsa_exception_fp_ieee_inexact 0
		.amdhsa_exception_int_div_zero 0
	.end_amdhsa_kernel
	.section	.text._Z16embed_kernel_vecILi8EEvPK14__hip_bfloat16PKiPfii,"axG",@progbits,_Z16embed_kernel_vecILi8EEvPK14__hip_bfloat16PKiPfii,comdat
.Lfunc_end26:
	.size	_Z16embed_kernel_vecILi8EEvPK14__hip_bfloat16PKiPfii, .Lfunc_end26-_Z16embed_kernel_vecILi8EEvPK14__hip_bfloat16PKiPfii
                                        ; -- End function
	.set _Z16embed_kernel_vecILi8EEvPK14__hip_bfloat16PKiPfii.num_vgpr, 46
	.set _Z16embed_kernel_vecILi8EEvPK14__hip_bfloat16PKiPfii.num_agpr, 0
	.set _Z16embed_kernel_vecILi8EEvPK14__hip_bfloat16PKiPfii.numbered_sgpr, 38
	.set _Z16embed_kernel_vecILi8EEvPK14__hip_bfloat16PKiPfii.num_named_barrier, 0
	.set _Z16embed_kernel_vecILi8EEvPK14__hip_bfloat16PKiPfii.private_seg_size, 0
	.set _Z16embed_kernel_vecILi8EEvPK14__hip_bfloat16PKiPfii.uses_vcc, 1
	.set _Z16embed_kernel_vecILi8EEvPK14__hip_bfloat16PKiPfii.uses_flat_scratch, 0
	.set _Z16embed_kernel_vecILi8EEvPK14__hip_bfloat16PKiPfii.has_dyn_sized_stack, 0
	.set _Z16embed_kernel_vecILi8EEvPK14__hip_bfloat16PKiPfii.has_recursion, 0
	.set _Z16embed_kernel_vecILi8EEvPK14__hip_bfloat16PKiPfii.has_indirect_call, 0
	.section	.AMDGPU.csdata,"",@progbits
; Kernel info:
; codeLenInByte = 1408
; TotalNumSgprs: 44
; NumVgprs: 46
; NumAgprs: 0
; TotalNumVgprs: 46
; ScratchSize: 0
; MemoryBound: 0
; FloatMode: 240
; IeeeMode: 1
; LDSByteSize: 0 bytes/workgroup (compile time only)
; SGPRBlocks: 5
; VGPRBlocks: 5
; NumSGPRsForWavesPerEU: 44
; NumVGPRsForWavesPerEU: 46
; AccumOffset: 48
; Occupancy: 8
; WaveLimiterHint : 1
; COMPUTE_PGM_RSRC2:SCRATCH_EN: 0
; COMPUTE_PGM_RSRC2:USER_SGPR: 2
; COMPUTE_PGM_RSRC2:TRAP_HANDLER: 0
; COMPUTE_PGM_RSRC2:TGID_X_EN: 1
; COMPUTE_PGM_RSRC2:TGID_Y_EN: 1
; COMPUTE_PGM_RSRC2:TGID_Z_EN: 0
; COMPUTE_PGM_RSRC2:TIDIG_COMP_CNT: 0
; COMPUTE_PGM_RSRC3_GFX90A:ACCUM_OFFSET: 11
; COMPUTE_PGM_RSRC3_GFX90A:TG_SPLIT: 0
	.section	.text._Z16embed_kernel_vecILi2EEvPK14__hip_bfloat16PKiPfii,"axG",@progbits,_Z16embed_kernel_vecILi2EEvPK14__hip_bfloat16PKiPfii,comdat
	.protected	_Z16embed_kernel_vecILi2EEvPK14__hip_bfloat16PKiPfii ; -- Begin function _Z16embed_kernel_vecILi2EEvPK14__hip_bfloat16PKiPfii
	.globl	_Z16embed_kernel_vecILi2EEvPK14__hip_bfloat16PKiPfii
	.p2align	8
	.type	_Z16embed_kernel_vecILi2EEvPK14__hip_bfloat16PKiPfii,@function
_Z16embed_kernel_vecILi2EEvPK14__hip_bfloat16PKiPfii: ; @_Z16embed_kernel_vecILi2EEvPK14__hip_bfloat16PKiPfii
; %bb.0:
	s_mov_b32 s6, s3
	s_load_dword s3, s[0:1], 0x2c
	s_load_dwordx2 s[4:5], s[0:1], 0x18
	s_waitcnt lgkmcnt(0)
	s_and_b32 s3, s3, 0xffff
	s_mul_i32 s2, s2, s3
	v_add_lshl_u32 v0, s2, v0, 1
	s_cmp_lt_i32 s6, s4
	s_cselect_b64 s[2:3], -1, 0
	v_cmp_gt_i32_e32 vcc, s5, v0
	s_and_b64 s[2:3], s[2:3], vcc
	s_and_saveexec_b64 s[8:9], s[2:3]
	s_cbranch_execz .LBB27_5
; %bb.1:
	s_load_dwordx4 s[8:11], s[0:1], 0x0
	s_load_dwordx2 s[2:3], s[0:1], 0x10
	s_ashr_i32 s7, s6, 31
	s_lshl_b64 s[0:1], s[6:7], 2
	v_ashrrev_i32_e32 v1, 31, v0
	s_waitcnt lgkmcnt(0)
	s_add_u32 s0, s10, s0
	s_addc_u32 s1, s11, s1
	s_load_dword s4, s[0:1], 0x0
	s_mul_hi_i32 s1, s5, s6
	s_mul_i32 s0, s5, s6
	s_waitcnt lgkmcnt(0)
	s_mul_hi_i32 s7, s4, s5
	s_mul_i32 s6, s4, s5
	s_lshl_b64 s[6:7], s[6:7], 1
	s_add_u32 s6, s8, s6
	s_addc_u32 s7, s9, s7
	s_lshl_b64 s[0:1], s[0:1], 2
	s_add_u32 s0, s2, s0
	s_addc_u32 s1, s3, s1
	v_lshl_add_u64 v[2:3], v[0:1], 1, s[6:7]
	v_lshl_add_u64 v[4:5], v[0:1], 2, s[0:1]
	v_sub_u32_e32 v1, s5, v0
	v_cmp_gt_i32_e32 vcc, 2, v1
	v_cmp_lt_i32_e64 s[0:1], 1, v1
	s_and_saveexec_b64 s[2:3], s[0:1]
	s_cbranch_execz .LBB27_3
; %bb.2:
	global_load_dword v6, v[2:3], off
	s_waitcnt vmcnt(0)
	v_and_b32_e32 v7, 0xffff0000, v6
	v_lshlrev_b32_e32 v6, 16, v6
	global_store_dwordx2 v[4:5], v[6:7], off
.LBB27_3:
	s_or_b64 exec, exec, s[2:3]
	v_min_i32_e32 v1, 2, v1
	v_and_b32_e32 v6, -2, v1
	v_add_u32_e32 v0, v6, v0
	v_cmp_gt_i32_e64 s[0:1], s5, v0
	s_and_b64 s[0:1], vcc, s[0:1]
	s_and_b64 exec, exec, s[0:1]
	s_cbranch_execz .LBB27_5
; %bb.4:
	v_ashrrev_i32_e32 v7, 31, v6
	v_lshl_add_u64 v[0:1], v[6:7], 1, v[2:3]
	global_load_ushort v2, v[0:1], off
	v_lshl_add_u64 v[0:1], v[6:7], 2, v[4:5]
	s_waitcnt vmcnt(0)
	v_lshlrev_b32_e32 v2, 16, v2
	global_store_dword v[0:1], v2, off
.LBB27_5:
	s_endpgm
	.section	.rodata,"a",@progbits
	.p2align	6, 0x0
	.amdhsa_kernel _Z16embed_kernel_vecILi2EEvPK14__hip_bfloat16PKiPfii
		.amdhsa_group_segment_fixed_size 0
		.amdhsa_private_segment_fixed_size 0
		.amdhsa_kernarg_size 288
		.amdhsa_user_sgpr_count 2
		.amdhsa_user_sgpr_dispatch_ptr 0
		.amdhsa_user_sgpr_queue_ptr 0
		.amdhsa_user_sgpr_kernarg_segment_ptr 1
		.amdhsa_user_sgpr_dispatch_id 0
		.amdhsa_user_sgpr_kernarg_preload_length 0
		.amdhsa_user_sgpr_kernarg_preload_offset 0
		.amdhsa_user_sgpr_private_segment_size 0
		.amdhsa_uses_dynamic_stack 0
		.amdhsa_enable_private_segment 0
		.amdhsa_system_sgpr_workgroup_id_x 1
		.amdhsa_system_sgpr_workgroup_id_y 1
		.amdhsa_system_sgpr_workgroup_id_z 0
		.amdhsa_system_sgpr_workgroup_info 0
		.amdhsa_system_vgpr_workitem_id 0
		.amdhsa_next_free_vgpr 8
		.amdhsa_next_free_sgpr 12
		.amdhsa_accum_offset 8
		.amdhsa_reserve_vcc 1
		.amdhsa_float_round_mode_32 0
		.amdhsa_float_round_mode_16_64 0
		.amdhsa_float_denorm_mode_32 3
		.amdhsa_float_denorm_mode_16_64 3
		.amdhsa_dx10_clamp 1
		.amdhsa_ieee_mode 1
		.amdhsa_fp16_overflow 0
		.amdhsa_tg_split 0
		.amdhsa_exception_fp_ieee_invalid_op 0
		.amdhsa_exception_fp_denorm_src 0
		.amdhsa_exception_fp_ieee_div_zero 0
		.amdhsa_exception_fp_ieee_overflow 0
		.amdhsa_exception_fp_ieee_underflow 0
		.amdhsa_exception_fp_ieee_inexact 0
		.amdhsa_exception_int_div_zero 0
	.end_amdhsa_kernel
	.section	.text._Z16embed_kernel_vecILi2EEvPK14__hip_bfloat16PKiPfii,"axG",@progbits,_Z16embed_kernel_vecILi2EEvPK14__hip_bfloat16PKiPfii,comdat
.Lfunc_end27:
	.size	_Z16embed_kernel_vecILi2EEvPK14__hip_bfloat16PKiPfii, .Lfunc_end27-_Z16embed_kernel_vecILi2EEvPK14__hip_bfloat16PKiPfii
                                        ; -- End function
	.set _Z16embed_kernel_vecILi2EEvPK14__hip_bfloat16PKiPfii.num_vgpr, 8
	.set _Z16embed_kernel_vecILi2EEvPK14__hip_bfloat16PKiPfii.num_agpr, 0
	.set _Z16embed_kernel_vecILi2EEvPK14__hip_bfloat16PKiPfii.numbered_sgpr, 12
	.set _Z16embed_kernel_vecILi2EEvPK14__hip_bfloat16PKiPfii.num_named_barrier, 0
	.set _Z16embed_kernel_vecILi2EEvPK14__hip_bfloat16PKiPfii.private_seg_size, 0
	.set _Z16embed_kernel_vecILi2EEvPK14__hip_bfloat16PKiPfii.uses_vcc, 1
	.set _Z16embed_kernel_vecILi2EEvPK14__hip_bfloat16PKiPfii.uses_flat_scratch, 0
	.set _Z16embed_kernel_vecILi2EEvPK14__hip_bfloat16PKiPfii.has_dyn_sized_stack, 0
	.set _Z16embed_kernel_vecILi2EEvPK14__hip_bfloat16PKiPfii.has_recursion, 0
	.set _Z16embed_kernel_vecILi2EEvPK14__hip_bfloat16PKiPfii.has_indirect_call, 0
	.section	.AMDGPU.csdata,"",@progbits
; Kernel info:
; codeLenInByte = 316
; TotalNumSgprs: 18
; NumVgprs: 8
; NumAgprs: 0
; TotalNumVgprs: 8
; ScratchSize: 0
; MemoryBound: 0
; FloatMode: 240
; IeeeMode: 1
; LDSByteSize: 0 bytes/workgroup (compile time only)
; SGPRBlocks: 2
; VGPRBlocks: 0
; NumSGPRsForWavesPerEU: 18
; NumVGPRsForWavesPerEU: 8
; AccumOffset: 8
; Occupancy: 8
; WaveLimiterHint : 1
; COMPUTE_PGM_RSRC2:SCRATCH_EN: 0
; COMPUTE_PGM_RSRC2:USER_SGPR: 2
; COMPUTE_PGM_RSRC2:TRAP_HANDLER: 0
; COMPUTE_PGM_RSRC2:TGID_X_EN: 1
; COMPUTE_PGM_RSRC2:TGID_Y_EN: 1
; COMPUTE_PGM_RSRC2:TGID_Z_EN: 0
; COMPUTE_PGM_RSRC2:TIDIG_COMP_CNT: 0
; COMPUTE_PGM_RSRC3_GFX90A:ACCUM_OFFSET: 1
; COMPUTE_PGM_RSRC3_GFX90A:TG_SPLIT: 0
	.section	.text._Z16split_qkv_kernelILi4EEvPKfPfPvS3_iiiiiPKiiS5_xiiPKxS5_S5_,"axG",@progbits,_Z16split_qkv_kernelILi4EEvPKfPfPvS3_iiiiiPKiiS5_xiiPKxS5_S5_,comdat
	.protected	_Z16split_qkv_kernelILi4EEvPKfPfPvS3_iiiiiPKiiS5_xiiPKxS5_S5_ ; -- Begin function _Z16split_qkv_kernelILi4EEvPKfPfPvS3_iiiiiPKiiS5_xiiPKxS5_S5_
	.globl	_Z16split_qkv_kernelILi4EEvPKfPfPvS3_iiiiiPKiiS5_xiiPKxS5_S5_
	.p2align	8
	.type	_Z16split_qkv_kernelILi4EEvPKfPfPvS3_iiiiiPKiiS5_xiiPKxS5_S5_,@function
_Z16split_qkv_kernelILi4EEvPKfPfPvS3_iiiiiPKiiS5_xiiPKxS5_S5_: ; @_Z16split_qkv_kernelILi4EEvPKfPfPvS3_iiiiiPKiiS5_xiiPKxS5_S5_
; %bb.0:
	s_load_dwordx4 s[4:7], s[0:1], 0x20
	s_waitcnt lgkmcnt(0)
	s_cmp_ge_i32 s3, s4
	s_cbranch_scc1 .LBB28_25
; %bb.1:
	s_mov_b32 s10, s3
	s_load_dwordx2 s[18:19], s[0:1], 0x70
	s_load_dwordx4 s[12:15], s[0:1], 0x60
	s_load_dword s20, s[0:1], 0x30
	s_load_dwordx2 s[16:17], s[0:1], 0x0
	s_load_dwordx2 s[22:23], s[0:1], 0x48
	;; [unrolled: 1-line block ×3, first 2 shown]
	s_load_dword s3, s[0:1], 0x84
	s_waitcnt lgkmcnt(0)
	s_ashr_i32 s21, s20, 31
	s_lshl_b64 s[8:9], s[20:21], 3
	s_add_u32 s8, s12, s8
	s_addc_u32 s9, s13, s9
	s_lshl_b64 s[12:13], s[20:21], 2
	s_add_u32 s14, s14, s12
	s_addc_u32 s15, s15, s13
	s_add_u32 s12, s18, s12
	s_addc_u32 s13, s19, s13
	s_ashr_i32 s11, s10, 31
	s_load_dword s18, s[12:13], 0x0
	s_lshl_b64 s[12:13], s[10:11], 2
	s_load_dword s4, s[14:15], 0x0
	s_add_u32 s14, s24, s12
	s_addc_u32 s15, s25, s13
	s_load_dword s11, s[14:15], 0x0
	s_add_u32 s12, s22, s12
	s_addc_u32 s13, s23, s13
	s_waitcnt lgkmcnt(0)
	s_cmp_eq_u32 s18, 0
	s_cbranch_scc1 .LBB28_3
; %bb.2:
	s_abs_i32 s14, s4
	v_cvt_f32_u32_e32 v1, s14
	s_sub_i32 s18, 0, s14
	s_ashr_i32 s15, s11, 31
	s_abs_i32 s11, s11
	v_rcp_iflag_f32_e32 v1, v1
	s_nop 0
	v_mul_f32_e32 v1, 0x4f7ffffe, v1
	v_cvt_u32_f32_e32 v1, v1
	s_nop 0
	v_readfirstlane_b32 s19, v1
	s_mul_i32 s18, s18, s19
	s_mul_hi_u32 s18, s19, s18
	s_add_i32 s19, s19, s18
	s_mul_hi_u32 s18, s11, s19
	s_mul_i32 s18, s18, s14
	s_sub_i32 s11, s11, s18
	s_sub_i32 s18, s11, s14
	s_cmp_ge_u32 s11, s14
	s_cselect_b32 s11, s18, s11
	s_sub_i32 s18, s11, s14
	s_cmp_ge_u32 s11, s14
	s_cselect_b32 s11, s18, s11
	s_xor_b32 s11, s11, s15
	s_sub_i32 s11, s11, s15
.LBB28_3:
	s_lshl_b32 s7, s7, 1
	s_mul_i32 s14, s6, s5
	s_add_i32 s6, s7, s6
	s_and_b32 s3, 0xffff, s3
	s_mul_i32 s5, s6, s5
	s_mul_i32 s2, s2, s3
	v_add_u32_e32 v2, s2, v0
	s_mul_hi_i32 s3, s5, s10
	s_mul_i32 s2, s5, s10
	s_lshl_b64 s[2:3], s[2:3], 2
	s_add_u32 s16, s16, s2
	v_lshlrev_b32_e32 v0, 2, v2
	s_addc_u32 s17, s17, s3
	s_ashr_i32 s15, s14, 31
	v_cmp_gt_i32_e32 vcc, s14, v0
	s_and_saveexec_b64 s[2:3], vcc
	s_cbranch_execz .LBB28_5
; %bb.4:
	v_ashrrev_i32_e32 v3, 31, v2
	v_lshlrev_b64 v[6:7], 4, v[2:3]
	v_lshl_add_u64 v[2:3], s[16:17], 0, v[6:7]
	global_load_dwordx4 v[2:5], v[2:3], off
	s_load_dwordx2 s[6:7], s[0:1], 0x8
	s_mul_hi_i32 s19, s14, s10
	s_mul_i32 s18, s14, s10
	s_lshl_b64 s[18:19], s[18:19], 2
	s_waitcnt lgkmcnt(0)
	s_add_u32 s6, s6, s18
	s_addc_u32 s7, s7, s19
	v_lshl_add_u64 v[6:7], s[6:7], 0, v[6:7]
	s_waitcnt vmcnt(0)
	global_store_dwordx4 v[6:7], v[2:5], off
.LBB28_5:
	s_or_b64 exec, exec, s[2:3]
	s_load_dwordx2 s[2:3], s[0:1], 0x58
	s_waitcnt lgkmcnt(0)
	v_cmp_gt_i32_e32 vcc, s2, v0
	s_and_saveexec_b64 s[6:7], vcc
	s_cbranch_execz .LBB28_25
; %bb.6:
	s_load_dwordx4 s[20:23], s[0:1], 0x10
	s_load_dword s5, s[12:13], 0x0
	s_load_dwordx2 s[6:7], s[8:9], 0x0
	s_cmp_lg_u32 s3, 0
	s_cselect_b64 s[0:1], -1, 0
	s_ashr_i32 s9, s2, 31
	s_waitcnt lgkmcnt(0)
	s_mul_hi_i32 s8, s5, s4
	s_mul_i32 s5, s5, s4
	s_ashr_i32 s4, s11, 31
	s_add_u32 s5, s5, s11
	s_addc_u32 s4, s8, s4
	s_mul_i32 s8, s5, s9
	s_mul_hi_u32 s10, s5, s2
	s_add_i32 s8, s10, s8
	s_mul_i32 s4, s4, s2
	s_add_i32 s8, s8, s4
	s_mul_i32 s5, s5, s2
	s_add_u32 s4, s5, s6
	s_addc_u32 s5, s8, s7
	s_cmp_eq_u32 s3, 0
	s_cselect_b64 s[6:7], -1, 0
	s_and_b64 vcc, s[6:7], exec
	s_cselect_b32 s3, 2, 1
	s_lshl_b64 s[6:7], s[4:5], s3
	s_add_u32 s4, s20, s6
	s_addc_u32 s5, s21, s7
	s_add_u32 s6, s22, s6
	s_addc_u32 s7, s23, s7
	s_lshl_b64 s[10:11], s[14:15], 2
	s_add_u32 s10, s16, s10
	s_addc_u32 s11, s17, s11
	v_ashrrev_i32_e32 v1, 31, v0
	v_lshl_add_u64 v[2:3], v[0:1], 2, s[10:11]
	global_load_dword v4, v[2:3], off
	s_mov_b32 s8, s2
	s_lshl_b64 s[8:9], s[8:9], 2
	s_add_u32 s8, s10, s8
	s_addc_u32 s9, s11, s9
	s_mov_b64 s[10:11], -1
	s_cbranch_vccnz .LBB28_8
; %bb.7:
	v_lshl_add_u64 v[6:7], v[0:1], 2, s[8:9]
	global_load_dword v5, v[6:7], off
	v_lshlrev_b64 v[6:7], 1, v[0:1]
	s_waitcnt vmcnt(1)
	v_cvt_pk_bf16_f32 v10, v4, s0
	v_lshl_add_u64 v[8:9], s[4:5], 0, v[6:7]
	v_lshl_add_u64 v[6:7], s[6:7], 0, v[6:7]
	s_mov_b64 s[10:11], 0
	global_store_short v[8:9], v10, off
	s_waitcnt vmcnt(1)
	v_cvt_pk_bf16_f32 v5, v5, s0
	global_store_short v[6:7], v5, off
.LBB28_8:
	s_andn2_b64 vcc, exec, s[10:11]
	s_cbranch_vccnz .LBB28_10
; %bb.9:
	v_lshlrev_b64 v[6:7], 2, v[0:1]
	v_lshl_add_u64 v[8:9], s[8:9], 0, v[6:7]
	global_load_dword v10, v[8:9], off
	v_lshl_add_u64 v[8:9], s[4:5], 0, v[6:7]
	s_waitcnt vmcnt(1)
	global_store_dword v[8:9], v4, off
	v_lshl_add_u64 v[4:5], s[6:7], 0, v[6:7]
	s_waitcnt vmcnt(1)
	global_store_dword v[4:5], v10, off
.LBB28_10:
	s_waitcnt vmcnt(0)
	v_or_b32_e32 v4, 1, v0
	v_cmp_gt_i32_e32 vcc, s2, v4
	v_cndmask_b32_e64 v4, 0, 1, s[0:1]
	v_cmp_ne_u32_e64 s[0:1], 1, v4
	s_and_saveexec_b64 s[10:11], vcc
	s_cbranch_execz .LBB28_15
; %bb.11:
	global_load_dword v4, v[2:3], off offset:4
	s_and_b64 vcc, exec, s[0:1]
	s_mov_b64 s[12:13], -1
	s_cbranch_vccnz .LBB28_13
; %bb.12:
	v_lshl_add_u64 v[6:7], v[0:1], 2, s[8:9]
	global_load_dword v5, v[6:7], off offset:4
	v_lshlrev_b64 v[6:7], 1, v[0:1]
	s_waitcnt vmcnt(1)
	v_cvt_pk_bf16_f32 v10, v4, s0
	v_lshl_add_u64 v[8:9], s[4:5], 0, v[6:7]
	v_lshl_add_u64 v[6:7], s[6:7], 0, v[6:7]
	s_mov_b64 s[12:13], 0
	global_store_short v[8:9], v10, off offset:2
	s_waitcnt vmcnt(1)
	v_cvt_pk_bf16_f32 v5, v5, s0
	global_store_short v[6:7], v5, off offset:2
.LBB28_13:
	s_andn2_b64 vcc, exec, s[12:13]
	s_cbranch_vccnz .LBB28_15
; %bb.14:
	v_lshlrev_b64 v[6:7], 2, v[0:1]
	v_lshl_add_u64 v[8:9], s[8:9], 0, v[6:7]
	global_load_dword v10, v[8:9], off offset:4
	v_lshl_add_u64 v[8:9], s[4:5], 0, v[6:7]
	s_waitcnt vmcnt(1)
	global_store_dword v[8:9], v4, off offset:4
	v_lshl_add_u64 v[4:5], s[6:7], 0, v[6:7]
	s_waitcnt vmcnt(1)
	global_store_dword v[4:5], v10, off offset:4
.LBB28_15:
	s_or_b64 exec, exec, s[10:11]
	s_waitcnt vmcnt(0)
	v_or_b32_e32 v4, 2, v0
	v_cmp_gt_i32_e32 vcc, s2, v4
	s_and_saveexec_b64 s[10:11], vcc
	s_cbranch_execz .LBB28_20
; %bb.16:
	global_load_dword v4, v[2:3], off offset:8
	s_and_b64 vcc, exec, s[0:1]
	s_mov_b64 s[12:13], -1
	s_cbranch_vccnz .LBB28_18
; %bb.17:
	v_lshl_add_u64 v[6:7], v[0:1], 2, s[8:9]
	global_load_dword v5, v[6:7], off offset:8
	v_lshlrev_b64 v[6:7], 1, v[0:1]
	s_waitcnt vmcnt(1)
	v_cvt_pk_bf16_f32 v10, v4, s0
	v_lshl_add_u64 v[8:9], s[4:5], 0, v[6:7]
	v_lshl_add_u64 v[6:7], s[6:7], 0, v[6:7]
	s_mov_b64 s[12:13], 0
	global_store_short v[8:9], v10, off offset:4
	s_waitcnt vmcnt(1)
	v_cvt_pk_bf16_f32 v5, v5, s0
	global_store_short v[6:7], v5, off offset:4
.LBB28_18:
	s_andn2_b64 vcc, exec, s[12:13]
	s_cbranch_vccnz .LBB28_20
; %bb.19:
	v_lshlrev_b64 v[6:7], 2, v[0:1]
	v_lshl_add_u64 v[8:9], s[8:9], 0, v[6:7]
	global_load_dword v10, v[8:9], off offset:8
	v_lshl_add_u64 v[8:9], s[4:5], 0, v[6:7]
	s_waitcnt vmcnt(1)
	global_store_dword v[8:9], v4, off offset:8
	v_lshl_add_u64 v[4:5], s[6:7], 0, v[6:7]
	s_waitcnt vmcnt(1)
	global_store_dword v[4:5], v10, off offset:8
.LBB28_20:
	s_or_b64 exec, exec, s[10:11]
	s_waitcnt vmcnt(0)
	v_or_b32_e32 v4, 3, v0
	v_cmp_gt_i32_e32 vcc, s2, v4
	s_and_b64 exec, exec, vcc
	s_cbranch_execz .LBB28_25
; %bb.21:
	global_load_dword v2, v[2:3], off offset:12
	s_and_b64 vcc, exec, s[0:1]
	s_mov_b64 s[0:1], -1
	s_cbranch_vccnz .LBB28_23
; %bb.22:
	v_lshl_add_u64 v[4:5], v[0:1], 2, s[8:9]
	global_load_dword v3, v[4:5], off offset:12
	v_lshlrev_b64 v[4:5], 1, v[0:1]
	s_waitcnt vmcnt(1)
	v_cvt_pk_bf16_f32 v8, v2, s0
	v_lshl_add_u64 v[6:7], s[4:5], 0, v[4:5]
	v_lshl_add_u64 v[4:5], s[6:7], 0, v[4:5]
	global_store_short v[6:7], v8, off offset:6
	s_waitcnt vmcnt(1)
	v_cvt_pk_bf16_f32 v3, v3, s0
	s_mov_b64 s[0:1], 0
	global_store_short v[4:5], v3, off offset:6
.LBB28_23:
	s_andn2_b64 vcc, exec, s[0:1]
	s_cbranch_vccnz .LBB28_25
; %bb.24:
	v_lshlrev_b64 v[0:1], 2, v[0:1]
	v_lshl_add_u64 v[4:5], s[8:9], 0, v[0:1]
	global_load_dword v3, v[4:5], off offset:12
	v_lshl_add_u64 v[4:5], s[4:5], 0, v[0:1]
	v_lshl_add_u64 v[0:1], s[6:7], 0, v[0:1]
	s_waitcnt vmcnt(1)
	global_store_dword v[4:5], v2, off offset:12
	s_waitcnt vmcnt(1)
	global_store_dword v[0:1], v3, off offset:12
.LBB28_25:
	s_endpgm
	.section	.rodata,"a",@progbits
	.p2align	6, 0x0
	.amdhsa_kernel _Z16split_qkv_kernelILi4EEvPKfPfPvS3_iiiiiPKiiS5_xiiPKxS5_S5_
		.amdhsa_group_segment_fixed_size 0
		.amdhsa_private_segment_fixed_size 0
		.amdhsa_kernarg_size 376
		.amdhsa_user_sgpr_count 2
		.amdhsa_user_sgpr_dispatch_ptr 0
		.amdhsa_user_sgpr_queue_ptr 0
		.amdhsa_user_sgpr_kernarg_segment_ptr 1
		.amdhsa_user_sgpr_dispatch_id 0
		.amdhsa_user_sgpr_kernarg_preload_length 0
		.amdhsa_user_sgpr_kernarg_preload_offset 0
		.amdhsa_user_sgpr_private_segment_size 0
		.amdhsa_uses_dynamic_stack 0
		.amdhsa_enable_private_segment 0
		.amdhsa_system_sgpr_workgroup_id_x 1
		.amdhsa_system_sgpr_workgroup_id_y 1
		.amdhsa_system_sgpr_workgroup_id_z 0
		.amdhsa_system_sgpr_workgroup_info 0
		.amdhsa_system_vgpr_workitem_id 0
		.amdhsa_next_free_vgpr 11
		.amdhsa_next_free_sgpr 26
		.amdhsa_accum_offset 12
		.amdhsa_reserve_vcc 1
		.amdhsa_float_round_mode_32 0
		.amdhsa_float_round_mode_16_64 0
		.amdhsa_float_denorm_mode_32 3
		.amdhsa_float_denorm_mode_16_64 3
		.amdhsa_dx10_clamp 1
		.amdhsa_ieee_mode 1
		.amdhsa_fp16_overflow 0
		.amdhsa_tg_split 0
		.amdhsa_exception_fp_ieee_invalid_op 0
		.amdhsa_exception_fp_denorm_src 0
		.amdhsa_exception_fp_ieee_div_zero 0
		.amdhsa_exception_fp_ieee_overflow 0
		.amdhsa_exception_fp_ieee_underflow 0
		.amdhsa_exception_fp_ieee_inexact 0
		.amdhsa_exception_int_div_zero 0
	.end_amdhsa_kernel
	.section	.text._Z16split_qkv_kernelILi4EEvPKfPfPvS3_iiiiiPKiiS5_xiiPKxS5_S5_,"axG",@progbits,_Z16split_qkv_kernelILi4EEvPKfPfPvS3_iiiiiPKiiS5_xiiPKxS5_S5_,comdat
.Lfunc_end28:
	.size	_Z16split_qkv_kernelILi4EEvPKfPfPvS3_iiiiiPKiiS5_xiiPKxS5_S5_, .Lfunc_end28-_Z16split_qkv_kernelILi4EEvPKfPfPvS3_iiiiiPKiiS5_xiiPKxS5_S5_
                                        ; -- End function
	.set _Z16split_qkv_kernelILi4EEvPKfPfPvS3_iiiiiPKiiS5_xiiPKxS5_S5_.num_vgpr, 11
	.set _Z16split_qkv_kernelILi4EEvPKfPfPvS3_iiiiiPKiiS5_xiiPKxS5_S5_.num_agpr, 0
	.set _Z16split_qkv_kernelILi4EEvPKfPfPvS3_iiiiiPKiiS5_xiiPKxS5_S5_.numbered_sgpr, 26
	.set _Z16split_qkv_kernelILi4EEvPKfPfPvS3_iiiiiPKiiS5_xiiPKxS5_S5_.num_named_barrier, 0
	.set _Z16split_qkv_kernelILi4EEvPKfPfPvS3_iiiiiPKiiS5_xiiPKxS5_S5_.private_seg_size, 0
	.set _Z16split_qkv_kernelILi4EEvPKfPfPvS3_iiiiiPKiiS5_xiiPKxS5_S5_.uses_vcc, 1
	.set _Z16split_qkv_kernelILi4EEvPKfPfPvS3_iiiiiPKiiS5_xiiPKxS5_S5_.uses_flat_scratch, 0
	.set _Z16split_qkv_kernelILi4EEvPKfPfPvS3_iiiiiPKiiS5_xiiPKxS5_S5_.has_dyn_sized_stack, 0
	.set _Z16split_qkv_kernelILi4EEvPKfPfPvS3_iiiiiPKiiS5_xiiPKxS5_S5_.has_recursion, 0
	.set _Z16split_qkv_kernelILi4EEvPKfPfPvS3_iiiiiPKiiS5_xiiPKxS5_S5_.has_indirect_call, 0
	.section	.AMDGPU.csdata,"",@progbits
; Kernel info:
; codeLenInByte = 1420
; TotalNumSgprs: 32
; NumVgprs: 11
; NumAgprs: 0
; TotalNumVgprs: 11
; ScratchSize: 0
; MemoryBound: 0
; FloatMode: 240
; IeeeMode: 1
; LDSByteSize: 0 bytes/workgroup (compile time only)
; SGPRBlocks: 3
; VGPRBlocks: 1
; NumSGPRsForWavesPerEU: 32
; NumVGPRsForWavesPerEU: 11
; AccumOffset: 12
; Occupancy: 8
; WaveLimiterHint : 1
; COMPUTE_PGM_RSRC2:SCRATCH_EN: 0
; COMPUTE_PGM_RSRC2:USER_SGPR: 2
; COMPUTE_PGM_RSRC2:TRAP_HANDLER: 0
; COMPUTE_PGM_RSRC2:TGID_X_EN: 1
; COMPUTE_PGM_RSRC2:TGID_Y_EN: 1
; COMPUTE_PGM_RSRC2:TGID_Z_EN: 0
; COMPUTE_PGM_RSRC2:TIDIG_COMP_CNT: 0
; COMPUTE_PGM_RSRC3_GFX90A:ACCUM_OFFSET: 2
; COMPUTE_PGM_RSRC3_GFX90A:TG_SPLIT: 0
	.section	.text._Z16split_qkv_kernelILi1EEvPKfPfPvS3_iiiiiPKiiS5_xiiPKxS5_S5_,"axG",@progbits,_Z16split_qkv_kernelILi1EEvPKfPfPvS3_iiiiiPKiiS5_xiiPKxS5_S5_,comdat
	.protected	_Z16split_qkv_kernelILi1EEvPKfPfPvS3_iiiiiPKiiS5_xiiPKxS5_S5_ ; -- Begin function _Z16split_qkv_kernelILi1EEvPKfPfPvS3_iiiiiPKiiS5_xiiPKxS5_S5_
	.globl	_Z16split_qkv_kernelILi1EEvPKfPfPvS3_iiiiiPKiiS5_xiiPKxS5_S5_
	.p2align	8
	.type	_Z16split_qkv_kernelILi1EEvPKfPfPvS3_iiiiiPKiiS5_xiiPKxS5_S5_,@function
_Z16split_qkv_kernelILi1EEvPKfPfPvS3_iiiiiPKiiS5_xiiPKxS5_S5_: ; @_Z16split_qkv_kernelILi1EEvPKfPfPvS3_iiiiiPKiiS5_xiiPKxS5_S5_
; %bb.0:
	s_load_dwordx4 s[4:7], s[0:1], 0x20
	s_waitcnt lgkmcnt(0)
	s_cmp_ge_i32 s3, s4
	s_cbranch_scc1 .LBB29_10
; %bb.1:
	s_mov_b32 s12, s3
	s_load_dwordx2 s[18:19], s[0:1], 0x70
	s_load_dwordx4 s[8:11], s[0:1], 0x60
	s_load_dword s16, s[0:1], 0x30
	s_load_dwordx2 s[14:15], s[0:1], 0x0
	s_load_dwordx2 s[20:21], s[0:1], 0x48
	;; [unrolled: 1-line block ×3, first 2 shown]
	s_load_dword s3, s[0:1], 0x84
	s_waitcnt lgkmcnt(0)
	s_ashr_i32 s17, s16, 31
	s_lshl_b64 s[24:25], s[16:17], 3
	s_add_u32 s8, s8, s24
	s_addc_u32 s9, s9, s25
	s_lshl_b64 s[24:25], s[16:17], 2
	s_add_u32 s10, s10, s24
	s_addc_u32 s11, s11, s25
	s_load_dword s16, s[10:11], 0x0
	s_add_u32 s10, s18, s24
	s_addc_u32 s11, s19, s25
	s_ashr_i32 s13, s12, 31
	s_load_dword s4, s[10:11], 0x0
	s_lshl_b64 s[10:11], s[12:13], 2
	s_add_u32 s18, s22, s10
	s_addc_u32 s19, s23, s11
	s_load_dword s13, s[18:19], 0x0
	s_add_u32 s10, s20, s10
	s_addc_u32 s11, s21, s11
	s_waitcnt lgkmcnt(0)
	s_cmp_eq_u32 s4, 0
	s_cbranch_scc1 .LBB29_3
; %bb.2:
	s_abs_i32 s4, s16
	v_cvt_f32_u32_e32 v1, s4
	s_sub_i32 s18, 0, s4
	s_ashr_i32 s17, s13, 31
	s_abs_i32 s13, s13
	v_rcp_iflag_f32_e32 v1, v1
	s_nop 0
	v_mul_f32_e32 v1, 0x4f7ffffe, v1
	v_cvt_u32_f32_e32 v1, v1
	s_nop 0
	v_readfirstlane_b32 s19, v1
	s_mul_i32 s18, s18, s19
	s_mul_hi_u32 s18, s19, s18
	s_add_i32 s19, s19, s18
	s_mul_hi_u32 s18, s13, s19
	s_mul_i32 s18, s18, s4
	s_sub_i32 s13, s13, s18
	s_sub_i32 s18, s13, s4
	s_cmp_ge_u32 s13, s4
	s_cselect_b32 s13, s18, s13
	s_sub_i32 s18, s13, s4
	s_cmp_ge_u32 s13, s4
	s_cselect_b32 s4, s18, s13
	s_xor_b32 s4, s4, s17
	s_sub_i32 s13, s4, s17
.LBB29_3:
	s_lshl_b32 s7, s7, 1
	s_mul_i32 s4, s6, s5
	s_add_i32 s6, s7, s6
	s_and_b32 s3, 0xffff, s3
	s_mul_i32 s5, s6, s5
	s_mul_i32 s2, s2, s3
	v_add_u32_e32 v0, s2, v0
	s_mul_hi_i32 s3, s5, s12
	s_mul_i32 s2, s5, s12
	s_lshl_b64 s[2:3], s[2:3], 2
	s_add_u32 s6, s14, s2
	s_addc_u32 s7, s15, s3
	s_ashr_i32 s5, s4, 31
	v_cmp_gt_i32_e32 vcc, s4, v0
	v_ashrrev_i32_e32 v1, 31, v0
	s_and_saveexec_b64 s[2:3], vcc
	s_cbranch_execz .LBB29_5
; %bb.4:
	v_lshlrev_b64 v[2:3], 2, v[0:1]
	v_lshl_add_u64 v[4:5], s[6:7], 0, v[2:3]
	global_load_dword v4, v[4:5], off
	s_load_dwordx2 s[14:15], s[0:1], 0x8
	s_mul_hi_i32 s19, s4, s12
	s_mul_i32 s18, s4, s12
	s_lshl_b64 s[18:19], s[18:19], 2
	s_waitcnt lgkmcnt(0)
	s_add_u32 s14, s14, s18
	s_addc_u32 s15, s15, s19
	v_lshl_add_u64 v[2:3], s[14:15], 0, v[2:3]
	s_waitcnt vmcnt(0)
	global_store_dword v[2:3], v4, off
.LBB29_5:
	s_or_b64 exec, exec, s[2:3]
	s_load_dwordx2 s[2:3], s[0:1], 0x58
	s_waitcnt lgkmcnt(0)
	v_cmp_gt_i32_e32 vcc, s2, v0
	s_and_saveexec_b64 s[14:15], vcc
	s_cbranch_execz .LBB29_10
; %bb.6:
	s_lshl_b64 s[4:5], s[4:5], 2
	s_add_u32 s14, s6, s4
	s_addc_u32 s15, s7, s5
	v_lshlrev_b64 v[2:3], 2, v[0:1]
	v_lshl_add_u64 v[4:5], s[14:15], 0, v[2:3]
	global_load_dword v6, v[4:5], off
	s_load_dwordx4 s[4:7], s[0:1], 0x10
	s_load_dwordx2 s[18:19], s[8:9], 0x0
	s_load_dword s12, s[10:11], 0x0
	s_ashr_i32 s1, s2, 31
	s_mov_b32 s0, s2
	s_lshl_b64 s[8:9], s[0:1], 2
	s_add_u32 s8, s14, s8
	s_addc_u32 s9, s15, s9
	s_waitcnt lgkmcnt(0)
	s_mul_hi_i32 s0, s12, s16
	s_mul_i32 s12, s12, s16
	s_ashr_i32 s10, s13, 31
	s_add_u32 s11, s12, s13
	s_addc_u32 s0, s0, s10
	s_mul_i32 s1, s11, s1
	s_mul_hi_u32 s10, s11, s2
	s_add_i32 s1, s10, s1
	s_mul_i32 s0, s0, s2
	s_add_i32 s1, s1, s0
	s_mul_i32 s11, s11, s2
	s_add_u32 s0, s11, s18
	s_addc_u32 s1, s1, s19
	s_cmp_eq_u32 s3, 0
	s_cselect_b64 s[2:3], -1, 0
	s_and_b64 vcc, s[2:3], exec
	s_cselect_b32 s2, 2, 1
	s_lshl_b64 s[2:3], s[0:1], s2
	s_add_u32 s0, s6, s2
	s_addc_u32 s1, s7, s3
	s_add_u32 s2, s4, s2
	s_addc_u32 s3, s5, s3
	v_lshl_add_u64 v[4:5], s[8:9], 0, v[2:3]
	s_mov_b64 s[4:5], -1
	s_cbranch_vccnz .LBB29_8
; %bb.7:
	global_load_dword v7, v[4:5], off
	v_lshlrev_b64 v[0:1], 1, v[0:1]
	s_waitcnt vmcnt(1)
	v_cvt_pk_bf16_f32 v10, v6, s0
	v_lshl_add_u64 v[8:9], s[0:1], 0, v[0:1]
	v_lshl_add_u64 v[0:1], s[2:3], 0, v[0:1]
	global_store_short v[0:1], v10, off
	s_mov_b64 s[4:5], 0
	s_waitcnt vmcnt(1)
	v_cvt_pk_bf16_f32 v0, v7, s0
	global_store_short v[8:9], v0, off
.LBB29_8:
	s_andn2_b64 vcc, exec, s[4:5]
	s_cbranch_vccnz .LBB29_10
; %bb.9:
	global_load_dword v4, v[4:5], off
	v_lshl_add_u64 v[0:1], s[0:1], 0, v[2:3]
	v_lshl_add_u64 v[2:3], s[2:3], 0, v[2:3]
	s_waitcnt vmcnt(1)
	global_store_dword v[2:3], v6, off
	s_waitcnt vmcnt(1)
	global_store_dword v[0:1], v4, off
.LBB29_10:
	s_endpgm
	.section	.rodata,"a",@progbits
	.p2align	6, 0x0
	.amdhsa_kernel _Z16split_qkv_kernelILi1EEvPKfPfPvS3_iiiiiPKiiS5_xiiPKxS5_S5_
		.amdhsa_group_segment_fixed_size 0
		.amdhsa_private_segment_fixed_size 0
		.amdhsa_kernarg_size 376
		.amdhsa_user_sgpr_count 2
		.amdhsa_user_sgpr_dispatch_ptr 0
		.amdhsa_user_sgpr_queue_ptr 0
		.amdhsa_user_sgpr_kernarg_segment_ptr 1
		.amdhsa_user_sgpr_dispatch_id 0
		.amdhsa_user_sgpr_kernarg_preload_length 0
		.amdhsa_user_sgpr_kernarg_preload_offset 0
		.amdhsa_user_sgpr_private_segment_size 0
		.amdhsa_uses_dynamic_stack 0
		.amdhsa_enable_private_segment 0
		.amdhsa_system_sgpr_workgroup_id_x 1
		.amdhsa_system_sgpr_workgroup_id_y 1
		.amdhsa_system_sgpr_workgroup_id_z 0
		.amdhsa_system_sgpr_workgroup_info 0
		.amdhsa_system_vgpr_workitem_id 0
		.amdhsa_next_free_vgpr 11
		.amdhsa_next_free_sgpr 26
		.amdhsa_accum_offset 12
		.amdhsa_reserve_vcc 1
		.amdhsa_float_round_mode_32 0
		.amdhsa_float_round_mode_16_64 0
		.amdhsa_float_denorm_mode_32 3
		.amdhsa_float_denorm_mode_16_64 3
		.amdhsa_dx10_clamp 1
		.amdhsa_ieee_mode 1
		.amdhsa_fp16_overflow 0
		.amdhsa_tg_split 0
		.amdhsa_exception_fp_ieee_invalid_op 0
		.amdhsa_exception_fp_denorm_src 0
		.amdhsa_exception_fp_ieee_div_zero 0
		.amdhsa_exception_fp_ieee_overflow 0
		.amdhsa_exception_fp_ieee_underflow 0
		.amdhsa_exception_fp_ieee_inexact 0
		.amdhsa_exception_int_div_zero 0
	.end_amdhsa_kernel
	.section	.text._Z16split_qkv_kernelILi1EEvPKfPfPvS3_iiiiiPKiiS5_xiiPKxS5_S5_,"axG",@progbits,_Z16split_qkv_kernelILi1EEvPKfPfPvS3_iiiiiPKiiS5_xiiPKxS5_S5_,comdat
.Lfunc_end29:
	.size	_Z16split_qkv_kernelILi1EEvPKfPfPvS3_iiiiiPKiiS5_xiiPKxS5_S5_, .Lfunc_end29-_Z16split_qkv_kernelILi1EEvPKfPfPvS3_iiiiiPKiiS5_xiiPKxS5_S5_
                                        ; -- End function
	.set _Z16split_qkv_kernelILi1EEvPKfPfPvS3_iiiiiPKiiS5_xiiPKxS5_S5_.num_vgpr, 11
	.set _Z16split_qkv_kernelILi1EEvPKfPfPvS3_iiiiiPKiiS5_xiiPKxS5_S5_.num_agpr, 0
	.set _Z16split_qkv_kernelILi1EEvPKfPfPvS3_iiiiiPKiiS5_xiiPKxS5_S5_.numbered_sgpr, 26
	.set _Z16split_qkv_kernelILi1EEvPKfPfPvS3_iiiiiPKiiS5_xiiPKxS5_S5_.num_named_barrier, 0
	.set _Z16split_qkv_kernelILi1EEvPKfPfPvS3_iiiiiPKiiS5_xiiPKxS5_S5_.private_seg_size, 0
	.set _Z16split_qkv_kernelILi1EEvPKfPfPvS3_iiiiiPKiiS5_xiiPKxS5_S5_.uses_vcc, 1
	.set _Z16split_qkv_kernelILi1EEvPKfPfPvS3_iiiiiPKiiS5_xiiPKxS5_S5_.uses_flat_scratch, 0
	.set _Z16split_qkv_kernelILi1EEvPKfPfPvS3_iiiiiPKiiS5_xiiPKxS5_S5_.has_dyn_sized_stack, 0
	.set _Z16split_qkv_kernelILi1EEvPKfPfPvS3_iiiiiPKiiS5_xiiPKxS5_S5_.has_recursion, 0
	.set _Z16split_qkv_kernelILi1EEvPKfPfPvS3_iiiiiPKiiS5_xiiPKxS5_S5_.has_indirect_call, 0
	.section	.AMDGPU.csdata,"",@progbits
; Kernel info:
; codeLenInByte = 784
; TotalNumSgprs: 32
; NumVgprs: 11
; NumAgprs: 0
; TotalNumVgprs: 11
; ScratchSize: 0
; MemoryBound: 0
; FloatMode: 240
; IeeeMode: 1
; LDSByteSize: 0 bytes/workgroup (compile time only)
; SGPRBlocks: 3
; VGPRBlocks: 1
; NumSGPRsForWavesPerEU: 32
; NumVGPRsForWavesPerEU: 11
; AccumOffset: 12
; Occupancy: 8
; WaveLimiterHint : 1
; COMPUTE_PGM_RSRC2:SCRATCH_EN: 0
; COMPUTE_PGM_RSRC2:USER_SGPR: 2
; COMPUTE_PGM_RSRC2:TRAP_HANDLER: 0
; COMPUTE_PGM_RSRC2:TGID_X_EN: 1
; COMPUTE_PGM_RSRC2:TGID_Y_EN: 1
; COMPUTE_PGM_RSRC2:TGID_Z_EN: 0
; COMPUTE_PGM_RSRC2:TIDIG_COMP_CNT: 0
; COMPUTE_PGM_RSRC3_GFX90A:ACCUM_OFFSET: 2
; COMPUTE_PGM_RSRC3_GFX90A:TG_SPLIT: 0
	.text
	.p2alignl 6, 3212836864
	.fill 256, 4, 3212836864
	.section	.AMDGPU.gpr_maximums,"",@progbits
	.set amdgpu.max_num_vgpr, 0
	.set amdgpu.max_num_agpr, 0
	.set amdgpu.max_num_sgpr, 0
	.text
	.type	__hip_cuid_dd541856f456f35e,@object ; @__hip_cuid_dd541856f456f35e
	.section	.bss,"aw",@nobits
	.globl	__hip_cuid_dd541856f456f35e
__hip_cuid_dd541856f456f35e:
	.byte	0                               ; 0x0
	.size	__hip_cuid_dd541856f456f35e, 1

	.ident	"AMD clang version 22.0.0git (https://github.com/RadeonOpenCompute/llvm-project roc-7.2.4 26084 f58b06dce1f9c15707c5f808fd002e18c2accf7e)"
	.section	".note.GNU-stack","",@progbits
	.addrsig
	.addrsig_sym __hip_cuid_dd541856f456f35e
	.amdgpu_metadata
---
amdhsa.kernels:
  - .agpr_count:     0
    .args:
      - .actual_access:  read_only
        .address_space:  global
        .offset:         0
        .size:           8
        .value_kind:     global_buffer
      - .actual_access:  read_only
        .address_space:  global
        .offset:         8
        .size:           8
        .value_kind:     global_buffer
      - .actual_access:  write_only
        .address_space:  global
        .offset:         16
        .size:           8
        .value_kind:     global_buffer
      - .offset:         24
        .size:           4
        .value_kind:     by_value
      - .offset:         28
        .size:           4
        .value_kind:     by_value
      - .offset:         32
        .size:           4
        .value_kind:     hidden_block_count_x
      - .offset:         36
        .size:           4
        .value_kind:     hidden_block_count_y
      - .offset:         40
        .size:           4
        .value_kind:     hidden_block_count_z
      - .offset:         44
        .size:           2
        .value_kind:     hidden_group_size_x
      - .offset:         46
        .size:           2
        .value_kind:     hidden_group_size_y
      - .offset:         48
        .size:           2
        .value_kind:     hidden_group_size_z
      - .offset:         50
        .size:           2
        .value_kind:     hidden_remainder_x
      - .offset:         52
        .size:           2
        .value_kind:     hidden_remainder_y
      - .offset:         54
        .size:           2
        .value_kind:     hidden_remainder_z
      - .offset:         72
        .size:           8
        .value_kind:     hidden_global_offset_x
      - .offset:         80
        .size:           8
        .value_kind:     hidden_global_offset_y
      - .offset:         88
        .size:           8
        .value_kind:     hidden_global_offset_z
      - .offset:         96
        .size:           2
        .value_kind:     hidden_grid_dims
    .group_segment_fixed_size: 4
    .kernarg_segment_align: 8
    .kernarg_segment_size: 288
    .language:       OpenCL C
    .language_version:
      - 2
      - 0
    .max_flat_workgroup_size: 256
    .name:           _Z19embed_kernel_scalarPK14__hip_bfloat16PKiPfii
    .private_segment_fixed_size: 0
    .sgpr_count:     20
    .sgpr_spill_count: 0
    .symbol:         _Z19embed_kernel_scalarPK14__hip_bfloat16PKiPfii.kd
    .uniform_work_group_size: 1
    .uses_dynamic_stack: false
    .vgpr_count:     4
    .vgpr_spill_count: 0
    .wavefront_size: 64
  - .agpr_count:     0
    .args:
      - .actual_access:  read_only
        .address_space:  global
        .offset:         0
        .size:           8
        .value_kind:     global_buffer
      - .actual_access:  read_only
        .address_space:  global
        .offset:         8
        .size:           8
        .value_kind:     global_buffer
      - .actual_access:  write_only
        .address_space:  global
        .offset:         16
        .size:           8
        .value_kind:     global_buffer
      - .offset:         24
        .size:           4
        .value_kind:     by_value
      - .offset:         28
        .size:           4
        .value_kind:     by_value
      - .offset:         32
        .size:           4
        .value_kind:     by_value
    .group_segment_fixed_size: 17408
    .kernarg_segment_align: 8
    .kernarg_segment_size: 36
    .language:       OpenCL C
    .language_version:
      - 2
      - 0
    .max_flat_workgroup_size: 1024
    .name:           _Z25gemm_bf16_f32_mfma_logitsPK14__hip_bfloat16PKfPfiii
    .private_segment_fixed_size: 0
    .sgpr_count:     34
    .sgpr_spill_count: 0
    .symbol:         _Z25gemm_bf16_f32_mfma_logitsPK14__hip_bfloat16PKfPfiii.kd
    .uniform_work_group_size: 1
    .uses_dynamic_stack: false
    .vgpr_count:     54
    .vgpr_spill_count: 0
    .wavefront_size: 64
  - .agpr_count:     0
    .args:
      - .actual_access:  read_only
        .address_space:  global
        .offset:         0
        .size:           8
        .value_kind:     global_buffer
      - .actual_access:  read_only
        .address_space:  global
        .offset:         8
        .size:           8
        .value_kind:     global_buffer
      - .actual_access:  write_only
        .address_space:  global
        .offset:         16
        .size:           8
        .value_kind:     global_buffer
      - .actual_access:  read_only
        .address_space:  global
        .offset:         24
        .size:           8
        .value_kind:     global_buffer
      - .offset:         32
        .size:           4
        .value_kind:     by_value
      - .offset:         36
        .size:           4
        .value_kind:     by_value
      - .offset:         40
        .size:           4
        .value_kind:     by_value
    .group_segment_fixed_size: 17408
    .kernarg_segment_align: 8
    .kernarg_segment_size: 44
    .language:       OpenCL C
    .language_version:
      - 2
      - 0
    .max_flat_workgroup_size: 1024
    .name:           _Z20gemm_bf16_f32_mfma_oPK14__hip_bfloat16PKfPfS1_iii
    .private_segment_fixed_size: 0
    .sgpr_count:     42
    .sgpr_spill_count: 0
    .symbol:         _Z20gemm_bf16_f32_mfma_oPK14__hip_bfloat16PKfPfS1_iii.kd
    .uniform_work_group_size: 1
    .uses_dynamic_stack: false
    .vgpr_count:     56
    .vgpr_spill_count: 0
    .wavefront_size: 64
  - .agpr_count:     0
    .args:
      - .actual_access:  read_only
        .address_space:  global
        .offset:         0
        .size:           8
        .value_kind:     global_buffer
      - .actual_access:  read_only
        .address_space:  global
        .offset:         8
        .size:           8
        .value_kind:     global_buffer
      - .actual_access:  write_only
        .address_space:  global
        .offset:         16
        .size:           8
        .value_kind:     global_buffer
      - .actual_access:  read_only
        .address_space:  global
        .offset:         24
        .size:           8
        .value_kind:     global_buffer
      - .offset:         32
        .size:           4
        .value_kind:     by_value
      - .offset:         36
        .size:           4
        .value_kind:     by_value
      - .offset:         40
        .size:           4
        .value_kind:     by_value
    .group_segment_fixed_size: 17408
    .kernarg_segment_align: 8
    .kernarg_segment_size: 44
    .language:       OpenCL C
    .language_version:
      - 2
      - 0
    .max_flat_workgroup_size: 1024
    .name:           _Z22gemm_bf16_f32_mfma_qkvPK14__hip_bfloat16PKfPfS1_iii
    .private_segment_fixed_size: 0
    .sgpr_count:     42
    .sgpr_spill_count: 0
    .symbol:         _Z22gemm_bf16_f32_mfma_qkvPK14__hip_bfloat16PKfPfS1_iii.kd
    .uniform_work_group_size: 1
    .uses_dynamic_stack: false
    .vgpr_count:     56
    .vgpr_spill_count: 0
    .wavefront_size: 64
  - .agpr_count:     0
    .args:
      - .actual_access:  read_only
        .address_space:  global
        .offset:         0
        .size:           8
        .value_kind:     global_buffer
      - .actual_access:  read_only
        .address_space:  global
        .offset:         8
        .size:           8
        .value_kind:     global_buffer
      - .actual_access:  write_only
        .address_space:  global
        .offset:         16
        .size:           8
        .value_kind:     global_buffer
      - .actual_access:  read_only
        .address_space:  global
        .offset:         24
        .size:           8
        .value_kind:     global_buffer
      - .offset:         32
        .size:           4
        .value_kind:     by_value
      - .offset:         36
        .size:           4
        .value_kind:     by_value
      - .offset:         40
        .size:           4
        .value_kind:     by_value
    .group_segment_fixed_size: 17408
    .kernarg_segment_align: 8
    .kernarg_segment_size: 44
    .language:       OpenCL C
    .language_version:
      - 2
      - 0
    .max_flat_workgroup_size: 1024
    .name:           _Z25gemm_bf16_f32_mfma_routerPK14__hip_bfloat16PKfPfS1_iii
    .private_segment_fixed_size: 0
    .sgpr_count:     42
    .sgpr_spill_count: 0
    .symbol:         _Z25gemm_bf16_f32_mfma_routerPK14__hip_bfloat16PKfPfS1_iii.kd
    .uniform_work_group_size: 1
    .uses_dynamic_stack: false
    .vgpr_count:     56
    .vgpr_spill_count: 0
    .wavefront_size: 64
  - .agpr_count:     0
    .args:
      - .actual_access:  read_only
        .address_space:  global
        .offset:         0
        .size:           8
        .value_kind:     global_buffer
      - .offset:         8
        .size:           4
        .value_kind:     by_value
      - .offset:         12
        .size:           4
        .value_kind:     by_value
      - .actual_access:  read_only
        .address_space:  global
        .offset:         16
        .size:           8
        .value_kind:     global_buffer
      - .actual_access:  write_only
        .address_space:  global
        .offset:         24
        .size:           8
        .value_kind:     global_buffer
      - .actual_access:  read_only
        .address_space:  global
        .offset:         32
        .size:           8
        .value_kind:     global_buffer
      - .actual_access:  read_only
        .address_space:  global
        .offset:         40
        .size:           8
        .value_kind:     global_buffer
      - .offset:         48
        .size:           4
        .value_kind:     by_value
      - .offset:         52
        .size:           4
        .value_kind:     by_value
      - .offset:         56
        .size:           8
        .value_kind:     by_value
      - .offset:         64
        .size:           8
        .value_kind:     by_value
      - .offset:         72
        .size:           4
        .value_kind:     by_value
      - .offset:         76
        .size:           4
        .value_kind:     by_value
      - .offset:         80
        .size:           4
        .value_kind:     hidden_block_count_x
      - .offset:         84
        .size:           4
        .value_kind:     hidden_block_count_y
      - .offset:         88
        .size:           4
        .value_kind:     hidden_block_count_z
      - .offset:         92
        .size:           2
        .value_kind:     hidden_group_size_x
      - .offset:         94
        .size:           2
        .value_kind:     hidden_group_size_y
      - .offset:         96
        .size:           2
        .value_kind:     hidden_group_size_z
      - .offset:         98
        .size:           2
        .value_kind:     hidden_remainder_x
      - .offset:         100
        .size:           2
        .value_kind:     hidden_remainder_y
      - .offset:         102
        .size:           2
        .value_kind:     hidden_remainder_z
      - .offset:         120
        .size:           8
        .value_kind:     hidden_global_offset_x
      - .offset:         128
        .size:           8
        .value_kind:     hidden_global_offset_y
      - .offset:         136
        .size:           8
        .value_kind:     hidden_global_offset_z
      - .offset:         144
        .size:           2
        .value_kind:     hidden_grid_dims
    .group_segment_fixed_size: 17408
    .kernarg_segment_align: 8
    .kernarg_segment_size: 336
    .language:       OpenCL C
    .language_version:
      - 2
      - 0
    .max_flat_workgroup_size: 1024
    .name:           _Z27moe_mlp1_swiglu_mfma_kernelPKiiiPKfPfPK14__hip_bfloat16S6_iixxff
    .private_segment_fixed_size: 0
    .sgpr_count:     58
    .sgpr_spill_count: 0
    .symbol:         _Z27moe_mlp1_swiglu_mfma_kernelPKiiiPKfPfPK14__hip_bfloat16S6_iixxff.kd
    .uniform_work_group_size: 1
    .uses_dynamic_stack: false
    .vgpr_count:     68
    .vgpr_spill_count: 0
    .wavefront_size: 64
  - .agpr_count:     0
    .args:
      - .actual_access:  read_only
        .address_space:  global
        .offset:         0
        .size:           8
        .value_kind:     global_buffer
      - .offset:         8
        .size:           4
        .value_kind:     by_value
      - .offset:         12
        .size:           4
        .value_kind:     by_value
      - .actual_access:  read_only
        .address_space:  global
        .offset:         16
        .size:           8
        .value_kind:     global_buffer
      - .actual_access:  read_only
        .address_space:  global
        .offset:         24
        .size:           8
        .value_kind:     global_buffer
      - .actual_access:  read_only
        .address_space:  global
        .offset:         32
        .size:           8
        .value_kind:     global_buffer
      - .address_space:  global
        .offset:         40
        .size:           8
        .value_kind:     global_buffer
      - .actual_access:  read_only
        .address_space:  global
        .offset:         48
        .size:           8
        .value_kind:     global_buffer
      - .actual_access:  read_only
        .address_space:  global
        .offset:         56
        .size:           8
        .value_kind:     global_buffer
      - .offset:         64
        .size:           4
        .value_kind:     by_value
      - .offset:         68
        .size:           4
        .value_kind:     by_value
      - .offset:         72
        .size:           8
        .value_kind:     by_value
      - .offset:         80
        .size:           8
        .value_kind:     by_value
      - .offset:         88
        .size:           4
        .value_kind:     hidden_block_count_x
      - .offset:         92
        .size:           4
        .value_kind:     hidden_block_count_y
      - .offset:         96
        .size:           4
        .value_kind:     hidden_block_count_z
      - .offset:         100
        .size:           2
        .value_kind:     hidden_group_size_x
      - .offset:         102
        .size:           2
        .value_kind:     hidden_group_size_y
      - .offset:         104
        .size:           2
        .value_kind:     hidden_group_size_z
      - .offset:         106
        .size:           2
        .value_kind:     hidden_remainder_x
      - .offset:         108
        .size:           2
        .value_kind:     hidden_remainder_y
      - .offset:         110
        .size:           2
        .value_kind:     hidden_remainder_z
      - .offset:         128
        .size:           8
        .value_kind:     hidden_global_offset_x
      - .offset:         136
        .size:           8
        .value_kind:     hidden_global_offset_y
      - .offset:         144
        .size:           8
        .value_kind:     hidden_global_offset_z
      - .offset:         152
        .size:           2
        .value_kind:     hidden_grid_dims
    .group_segment_fixed_size: 17408
    .kernarg_segment_align: 8
    .kernarg_segment_size: 344
    .language:       OpenCL C
    .language_version:
      - 2
      - 0
    .max_flat_workgroup_size: 1024
    .name:           _Z28moe_mlp2_scatter_mfma_kernelPKiiiPKfS0_S2_PfPK14__hip_bfloat16S6_iixx
    .private_segment_fixed_size: 0
    .sgpr_count:     58
    .sgpr_spill_count: 0
    .symbol:         _Z28moe_mlp2_scatter_mfma_kernelPKiiiPKfS0_S2_PfPK14__hip_bfloat16S6_iixx.kd
    .uniform_work_group_size: 1
    .uses_dynamic_stack: false
    .vgpr_count:     64
    .vgpr_spill_count: 0
    .wavefront_size: 64
  - .agpr_count:     0
    .args:
      - .actual_access:  read_only
        .address_space:  global
        .offset:         0
        .size:           8
        .value_kind:     global_buffer
      - .offset:         8
        .size:           4
        .value_kind:     by_value
      - .offset:         12
        .size:           4
        .value_kind:     by_value
      - .actual_access:  read_only
        .address_space:  global
        .offset:         16
        .size:           8
        .value_kind:     global_buffer
      - .actual_access:  read_only
        .address_space:  global
        .offset:         24
        .size:           8
        .value_kind:     global_buffer
      - .actual_access:  write_only
        .address_space:  global
        .offset:         32
        .size:           8
        .value_kind:     global_buffer
      - .actual_access:  read_only
        .address_space:  global
        .offset:         40
        .size:           8
        .value_kind:     global_buffer
      - .actual_access:  read_only
        .address_space:  global
        .offset:         48
        .size:           8
        .value_kind:     global_buffer
      - .offset:         56
        .size:           4
        .value_kind:     by_value
      - .offset:         60
        .size:           4
        .value_kind:     by_value
      - .offset:         64
        .size:           8
        .value_kind:     by_value
      - .offset:         72
        .size:           8
        .value_kind:     by_value
      - .offset:         80
        .size:           4
        .value_kind:     hidden_block_count_x
      - .offset:         84
        .size:           4
        .value_kind:     hidden_block_count_y
      - .offset:         88
        .size:           4
        .value_kind:     hidden_block_count_z
      - .offset:         92
        .size:           2
        .value_kind:     hidden_group_size_x
      - .offset:         94
        .size:           2
        .value_kind:     hidden_group_size_y
      - .offset:         96
        .size:           2
        .value_kind:     hidden_group_size_z
      - .offset:         98
        .size:           2
        .value_kind:     hidden_remainder_x
      - .offset:         100
        .size:           2
        .value_kind:     hidden_remainder_y
      - .offset:         102
        .size:           2
        .value_kind:     hidden_remainder_z
      - .offset:         120
        .size:           8
        .value_kind:     hidden_global_offset_x
      - .offset:         128
        .size:           8
        .value_kind:     hidden_global_offset_y
      - .offset:         136
        .size:           8
        .value_kind:     hidden_global_offset_z
      - .offset:         144
        .size:           2
        .value_kind:     hidden_grid_dims
    .group_segment_fixed_size: 17408
    .kernarg_segment_align: 8
    .kernarg_segment_size: 336
    .language:       OpenCL C
    .language_version:
      - 2
      - 0
    .max_flat_workgroup_size: 1024
    .name:           _Z26moe_mlp2_store_mfma_kernelPKiiiPKfS2_PfPK14__hip_bfloat16S6_iixx
    .private_segment_fixed_size: 0
    .sgpr_count:     56
    .sgpr_spill_count: 0
    .symbol:         _Z26moe_mlp2_store_mfma_kernelPKiiiPKfS2_PfPK14__hip_bfloat16S6_iixx.kd
    .uniform_work_group_size: 1
    .uses_dynamic_stack: false
    .vgpr_count:     56
    .vgpr_spill_count: 0
    .wavefront_size: 64
  - .agpr_count:     0
    .args:
      - .actual_access:  read_only
        .address_space:  global
        .offset:         0
        .size:           8
        .value_kind:     global_buffer
      - .actual_access:  read_only
        .address_space:  global
        .offset:         8
        .size:           8
        .value_kind:     global_buffer
      - .offset:         16
        .size:           4
        .value_kind:     by_value
      - .offset:         20
        .size:           4
        .value_kind:     by_value
      - .offset:         24
        .size:           4
        .value_kind:     by_value
      - .address_space:  global
        .offset:         32
        .size:           8
        .value_kind:     global_buffer
      - .offset:         40
        .size:           4
        .value_kind:     hidden_block_count_x
      - .offset:         44
        .size:           4
        .value_kind:     hidden_block_count_y
      - .offset:         48
        .size:           4
        .value_kind:     hidden_block_count_z
      - .offset:         52
        .size:           2
        .value_kind:     hidden_group_size_x
      - .offset:         54
        .size:           2
        .value_kind:     hidden_group_size_y
      - .offset:         56
        .size:           2
        .value_kind:     hidden_group_size_z
      - .offset:         58
        .size:           2
        .value_kind:     hidden_remainder_x
      - .offset:         60
        .size:           2
        .value_kind:     hidden_remainder_y
      - .offset:         62
        .size:           2
        .value_kind:     hidden_remainder_z
      - .offset:         80
        .size:           8
        .value_kind:     hidden_global_offset_x
      - .offset:         88
        .size:           8
        .value_kind:     hidden_global_offset_y
      - .offset:         96
        .size:           8
        .value_kind:     hidden_global_offset_z
      - .offset:         104
        .size:           2
        .value_kind:     hidden_grid_dims
    .group_segment_fixed_size: 0
    .kernarg_segment_align: 8
    .kernarg_segment_size: 296
    .language:       OpenCL C
    .language_version:
      - 2
      - 0
    .max_flat_workgroup_size: 1024
    .name:           _Z36accumulate_remote_assignments_kernelPKfPKiiiiPf
    .private_segment_fixed_size: 0
    .sgpr_count:     20
    .sgpr_spill_count: 0
    .symbol:         _Z36accumulate_remote_assignments_kernelPKfPKiiiiPf.kd
    .uniform_work_group_size: 1
    .uses_dynamic_stack: false
    .vgpr_count:     4
    .vgpr_spill_count: 0
    .wavefront_size: 64
  - .agpr_count:     0
    .args:
      - .address_space:  global
        .offset:         0
        .size:           8
        .value_kind:     global_buffer
      - .address_space:  global
        .offset:         8
        .size:           8
        .value_kind:     global_buffer
      - .address_space:  global
        .offset:         16
        .size:           8
        .value_kind:     global_buffer
      - .offset:         24
        .size:           4
        .value_kind:     by_value
      - .offset:         28
        .size:           4
        .value_kind:     by_value
      - .offset:         32
        .size:           4
        .value_kind:     hidden_block_count_x
      - .offset:         36
        .size:           4
        .value_kind:     hidden_block_count_y
      - .offset:         40
        .size:           4
        .value_kind:     hidden_block_count_z
      - .offset:         44
        .size:           2
        .value_kind:     hidden_group_size_x
      - .offset:         46
        .size:           2
        .value_kind:     hidden_group_size_y
      - .offset:         48
        .size:           2
        .value_kind:     hidden_group_size_z
      - .offset:         50
        .size:           2
        .value_kind:     hidden_remainder_x
      - .offset:         52
        .size:           2
        .value_kind:     hidden_remainder_y
      - .offset:         54
        .size:           2
        .value_kind:     hidden_remainder_z
      - .offset:         72
        .size:           8
        .value_kind:     hidden_global_offset_x
      - .offset:         80
        .size:           8
        .value_kind:     hidden_global_offset_y
      - .offset:         88
        .size:           8
        .value_kind:     hidden_global_offset_z
      - .offset:         96
        .size:           2
        .value_kind:     hidden_grid_dims
    .group_segment_fixed_size: 68
    .kernarg_segment_align: 8
    .kernarg_segment_size: 288
    .language:       OpenCL C
    .language_version:
      - 2
      - 0
    .max_flat_workgroup_size: 1024
    .name:           _Z14rmsnorm_kernelPfS_P14__hip_bfloat16ii
    .private_segment_fixed_size: 0
    .sgpr_count:     24
    .sgpr_spill_count: 0
    .symbol:         _Z14rmsnorm_kernelPfS_P14__hip_bfloat16ii.kd
    .uniform_work_group_size: 1
    .uses_dynamic_stack: false
    .vgpr_count:     11
    .vgpr_spill_count: 0
    .wavefront_size: 64
  - .agpr_count:     0
    .args:
      - .address_space:  global
        .offset:         0
        .size:           8
        .value_kind:     global_buffer
      - .address_space:  global
        .offset:         8
        .size:           8
        .value_kind:     global_buffer
      - .offset:         16
        .size:           4
        .value_kind:     by_value
      - .offset:         20
        .size:           4
        .value_kind:     by_value
      - .offset:         24
        .size:           4
        .value_kind:     by_value
      - .offset:         28
        .size:           4
        .value_kind:     by_value
      - .offset:         32
        .size:           4
        .value_kind:     by_value
      - .offset:         36
        .size:           4
        .value_kind:     by_value
      - .offset:         40
        .size:           4
        .value_kind:     by_value
      - .actual_access:  read_only
        .address_space:  global
        .offset:         48
        .size:           8
        .value_kind:     global_buffer
      - .offset:         56
        .size:           4
        .value_kind:     by_value
      - .actual_access:  read_only
        .address_space:  global
        .offset:         64
        .size:           8
        .value_kind:     global_buffer
      - .offset:         72
        .size:           8
        .value_kind:     by_value
      - .offset:         80
        .size:           4
        .value_kind:     by_value
      - .offset:         84
        .size:           4
        .value_kind:     by_value
      - .offset:         88
        .size:           4
        .value_kind:     by_value
      - .offset:         92
        .size:           4
        .value_kind:     by_value
      - .offset:         96
        .size:           4
        .value_kind:     by_value
      - .actual_access:  read_only
        .address_space:  global
        .offset:         104
        .size:           8
        .value_kind:     global_buffer
      - .actual_access:  read_only
        .address_space:  global
        .offset:         112
        .size:           8
        .value_kind:     global_buffer
      - .actual_access:  read_only
        .address_space:  global
        .offset:         120
        .size:           8
        .value_kind:     global_buffer
      - .offset:         128
        .size:           4
        .value_kind:     hidden_block_count_x
      - .offset:         132
        .size:           4
        .value_kind:     hidden_block_count_y
      - .offset:         136
        .size:           4
        .value_kind:     hidden_block_count_z
      - .offset:         140
        .size:           2
        .value_kind:     hidden_group_size_x
      - .offset:         142
        .size:           2
        .value_kind:     hidden_group_size_y
      - .offset:         144
        .size:           2
        .value_kind:     hidden_group_size_z
      - .offset:         146
        .size:           2
        .value_kind:     hidden_remainder_x
      - .offset:         148
        .size:           2
        .value_kind:     hidden_remainder_y
      - .offset:         150
        .size:           2
        .value_kind:     hidden_remainder_z
      - .offset:         168
        .size:           8
        .value_kind:     hidden_global_offset_x
      - .offset:         176
        .size:           8
        .value_kind:     hidden_global_offset_y
      - .offset:         184
        .size:           8
        .value_kind:     hidden_global_offset_z
      - .offset:         192
        .size:           2
        .value_kind:     hidden_grid_dims
    .group_segment_fixed_size: 0
    .kernarg_segment_align: 8
    .kernarg_segment_size: 384
    .language:       OpenCL C
    .language_version:
      - 2
      - 0
    .max_flat_workgroup_size: 1024
    .name:           _Z14rope_qk_kernelPfPviiiiiiiPKiiS2_xfffffPKxS2_S2_
    .private_segment_fixed_size: 0
    .sgpr_count:     58
    .sgpr_spill_count: 0
    .symbol:         _Z14rope_qk_kernelPfPviiiiiiiPKiiS2_xfffffPKxS2_S2_.kd
    .uniform_work_group_size: 1
    .uses_dynamic_stack: false
    .vgpr_count:     26
    .vgpr_spill_count: 0
    .wavefront_size: 64
  - .agpr_count:     0
    .args:
      - .actual_access:  read_only
        .address_space:  global
        .offset:         0
        .size:           8
        .value_kind:     global_buffer
      - .actual_access:  read_only
        .address_space:  global
        .offset:         8
        .size:           8
        .value_kind:     global_buffer
      - .offset:         16
        .size:           4
        .value_kind:     by_value
      - .offset:         20
        .size:           4
        .value_kind:     by_value
      - .actual_access:  write_only
        .address_space:  global
        .offset:         24
        .size:           8
        .value_kind:     global_buffer
      - .actual_access:  write_only
        .address_space:  global
        .offset:         32
        .size:           8
        .value_kind:     global_buffer
      - .actual_access:  write_only
        .address_space:  global
        .offset:         40
        .size:           8
        .value_kind:     global_buffer
      - .address_space:  global
        .offset:         48
        .size:           8
        .value_kind:     global_buffer
      - .offset:         56
        .size:           4
        .value_kind:     by_value
      - .offset:         64
        .size:           4
        .value_kind:     hidden_block_count_x
      - .offset:         68
        .size:           4
        .value_kind:     hidden_block_count_y
      - .offset:         72
        .size:           4
        .value_kind:     hidden_block_count_z
      - .offset:         76
        .size:           2
        .value_kind:     hidden_group_size_x
      - .offset:         78
        .size:           2
        .value_kind:     hidden_group_size_y
      - .offset:         80
        .size:           2
        .value_kind:     hidden_group_size_z
      - .offset:         82
        .size:           2
        .value_kind:     hidden_remainder_x
      - .offset:         84
        .size:           2
        .value_kind:     hidden_remainder_y
      - .offset:         86
        .size:           2
        .value_kind:     hidden_remainder_z
      - .offset:         104
        .size:           8
        .value_kind:     hidden_global_offset_x
      - .offset:         112
        .size:           8
        .value_kind:     hidden_global_offset_y
      - .offset:         120
        .size:           8
        .value_kind:     hidden_global_offset_z
      - .offset:         128
        .size:           2
        .value_kind:     hidden_grid_dims
    .group_segment_fixed_size: 0
    .kernarg_segment_align: 8
    .kernarg_segment_size: 320
    .language:       OpenCL C
    .language_version:
      - 2
      - 0
    .max_flat_workgroup_size: 1024
    .name:           _Z23count_tokens_per_expertPKiPKfiiPiS3_PfS3_i
    .private_segment_fixed_size: 0
    .sgpr_count:     22
    .sgpr_spill_count: 0
    .symbol:         _Z23count_tokens_per_expertPKiPKfiiPiS3_PfS3_i.kd
    .uniform_work_group_size: 1
    .uses_dynamic_stack: false
    .vgpr_count:     13
    .vgpr_spill_count: 0
    .wavefront_size: 64
  - .agpr_count:     0
    .args:
      - .address_space:  global
        .offset:         0
        .size:           8
        .value_kind:     global_buffer
      - .actual_access:  write_only
        .address_space:  global
        .offset:         8
        .size:           8
        .value_kind:     global_buffer
      - .offset:         16
        .size:           4
        .value_kind:     by_value
    .group_segment_fixed_size: 0
    .kernarg_segment_align: 8
    .kernarg_segment_size: 20
    .language:       OpenCL C
    .language_version:
      - 2
      - 0
    .max_flat_workgroup_size: 1024
    .name:           _Z29exclusive_scan_expert_offsetsPiS_i
    .private_segment_fixed_size: 0
    .sgpr_count:     20
    .sgpr_spill_count: 0
    .symbol:         _Z29exclusive_scan_expert_offsetsPiS_i.kd
    .uniform_work_group_size: 1
    .uses_dynamic_stack: false
    .vgpr_count:     18
    .vgpr_spill_count: 0
    .wavefront_size: 64
  - .agpr_count:     0
    .args:
      - .actual_access:  read_only
        .address_space:  global
        .offset:         0
        .size:           8
        .value_kind:     global_buffer
      - .actual_access:  read_only
        .address_space:  global
        .offset:         8
        .size:           8
        .value_kind:     global_buffer
      - .actual_access:  read_only
        .address_space:  global
        .offset:         16
        .size:           8
        .value_kind:     global_buffer
      - .offset:         24
        .size:           4
        .value_kind:     by_value
      - .actual_access:  read_only
        .address_space:  global
        .offset:         32
        .size:           8
        .value_kind:     global_buffer
      - .address_space:  global
        .offset:         40
        .size:           8
        .value_kind:     global_buffer
      - .actual_access:  write_only
        .address_space:  global
        .offset:         48
        .size:           8
        .value_kind:     global_buffer
      - .actual_access:  write_only
        .address_space:  global
        .offset:         56
        .size:           8
        .value_kind:     global_buffer
      - .offset:         64
        .size:           4
        .value_kind:     hidden_block_count_x
      - .offset:         68
        .size:           4
        .value_kind:     hidden_block_count_y
      - .offset:         72
        .size:           4
        .value_kind:     hidden_block_count_z
      - .offset:         76
        .size:           2
        .value_kind:     hidden_group_size_x
      - .offset:         78
        .size:           2
        .value_kind:     hidden_group_size_y
      - .offset:         80
        .size:           2
        .value_kind:     hidden_group_size_z
      - .offset:         82
        .size:           2
        .value_kind:     hidden_remainder_x
      - .offset:         84
        .size:           2
        .value_kind:     hidden_remainder_y
      - .offset:         86
        .size:           2
        .value_kind:     hidden_remainder_z
      - .offset:         104
        .size:           8
        .value_kind:     hidden_global_offset_x
      - .offset:         112
        .size:           8
        .value_kind:     hidden_global_offset_y
      - .offset:         120
        .size:           8
        .value_kind:     hidden_global_offset_z
      - .offset:         128
        .size:           2
        .value_kind:     hidden_grid_dims
    .group_segment_fixed_size: 0
    .kernarg_segment_align: 8
    .kernarg_segment_size: 320
    .language:       OpenCL C
    .language_version:
      - 2
      - 0
    .max_flat_workgroup_size: 1024
    .name:           _Z24compact_by_expert_kernelPKiS0_PKfiS0_PiS3_Pf
    .private_segment_fixed_size: 0
    .sgpr_count:     22
    .sgpr_spill_count: 0
    .symbol:         _Z24compact_by_expert_kernelPKiS0_PKfiS0_PiS3_Pf.kd
    .uniform_work_group_size: 1
    .uses_dynamic_stack: false
    .vgpr_count:     8
    .vgpr_spill_count: 0
    .wavefront_size: 64
  - .agpr_count:     0
    .args:
      - .actual_access:  read_only
        .address_space:  global
        .offset:         0
        .size:           8
        .value_kind:     global_buffer
      - .actual_access:  read_only
        .address_space:  global
        .offset:         8
        .size:           8
        .value_kind:     global_buffer
      - .actual_access:  write_only
        .address_space:  global
        .offset:         16
        .size:           8
        .value_kind:     global_buffer
      - .offset:         24
        .size:           4
        .value_kind:     by_value
      - .offset:         28
        .size:           4
        .value_kind:     by_value
      - .offset:         32
        .size:           4
        .value_kind:     hidden_block_count_x
      - .offset:         36
        .size:           4
        .value_kind:     hidden_block_count_y
      - .offset:         40
        .size:           4
        .value_kind:     hidden_block_count_z
      - .offset:         44
        .size:           2
        .value_kind:     hidden_group_size_x
      - .offset:         46
        .size:           2
        .value_kind:     hidden_group_size_y
      - .offset:         48
        .size:           2
        .value_kind:     hidden_group_size_z
      - .offset:         50
        .size:           2
        .value_kind:     hidden_remainder_x
      - .offset:         52
        .size:           2
        .value_kind:     hidden_remainder_y
      - .offset:         54
        .size:           2
        .value_kind:     hidden_remainder_z
      - .offset:         72
        .size:           8
        .value_kind:     hidden_global_offset_x
      - .offset:         80
        .size:           8
        .value_kind:     hidden_global_offset_y
      - .offset:         88
        .size:           8
        .value_kind:     hidden_global_offset_z
      - .offset:         96
        .size:           2
        .value_kind:     hidden_grid_dims
    .group_segment_fixed_size: 0
    .kernarg_segment_align: 8
    .kernarg_segment_size: 288
    .language:       OpenCL C
    .language_version:
      - 2
      - 0
    .max_flat_workgroup_size: 1024
    .name:           _Z23gather_rows_vec4_kernelPKfPKiPfii
    .private_segment_fixed_size: 0
    .sgpr_count:     18
    .sgpr_spill_count: 0
    .symbol:         _Z23gather_rows_vec4_kernelPKfPKiPfii.kd
    .uniform_work_group_size: 1
    .uses_dynamic_stack: false
    .vgpr_count:     6
    .vgpr_spill_count: 0
    .wavefront_size: 64
  - .agpr_count:     0
    .args:
      - .actual_access:  read_only
        .address_space:  global
        .offset:         0
        .size:           8
        .value_kind:     global_buffer
      - .actual_access:  read_only
        .address_space:  global
        .offset:         8
        .size:           8
        .value_kind:     global_buffer
      - .actual_access:  write_only
        .address_space:  global
        .offset:         16
        .size:           8
        .value_kind:     global_buffer
      - .offset:         24
        .size:           4
        .value_kind:     by_value
      - .offset:         28
        .size:           4
        .value_kind:     by_value
      - .offset:         32
        .size:           4
        .value_kind:     hidden_block_count_x
      - .offset:         36
        .size:           4
        .value_kind:     hidden_block_count_y
      - .offset:         40
        .size:           4
        .value_kind:     hidden_block_count_z
      - .offset:         44
        .size:           2
        .value_kind:     hidden_group_size_x
      - .offset:         46
        .size:           2
        .value_kind:     hidden_group_size_y
      - .offset:         48
        .size:           2
        .value_kind:     hidden_group_size_z
      - .offset:         50
        .size:           2
        .value_kind:     hidden_remainder_x
      - .offset:         52
        .size:           2
        .value_kind:     hidden_remainder_y
      - .offset:         54
        .size:           2
        .value_kind:     hidden_remainder_z
      - .offset:         72
        .size:           8
        .value_kind:     hidden_global_offset_x
      - .offset:         80
        .size:           8
        .value_kind:     hidden_global_offset_y
      - .offset:         88
        .size:           8
        .value_kind:     hidden_global_offset_z
      - .offset:         96
        .size:           2
        .value_kind:     hidden_grid_dims
    .group_segment_fixed_size: 0
    .kernarg_segment_align: 8
    .kernarg_segment_size: 288
    .language:       OpenCL C
    .language_version:
      - 2
      - 0
    .max_flat_workgroup_size: 1024
    .name:           _Z18gather_rows_kernelPKfPKiPfii
    .private_segment_fixed_size: 0
    .sgpr_count:     18
    .sgpr_spill_count: 0
    .symbol:         _Z18gather_rows_kernelPKfPKiPfii.kd
    .uniform_work_group_size: 1
    .uses_dynamic_stack: false
    .vgpr_count:     4
    .vgpr_spill_count: 0
    .wavefront_size: 64
  - .agpr_count:     0
    .args:
      - .actual_access:  read_only
        .address_space:  global
        .offset:         0
        .size:           8
        .value_kind:     global_buffer
      - .actual_access:  write_only
        .address_space:  global
        .offset:         8
        .size:           8
        .value_kind:     global_buffer
      - .actual_access:  write_only
        .address_space:  global
        .offset:         16
        .size:           8
        .value_kind:     global_buffer
      - .offset:         24
        .size:           4
        .value_kind:     by_value
    .group_segment_fixed_size: 0
    .kernarg_segment_align: 8
    .kernarg_segment_size: 28
    .language:       OpenCL C
    .language_version:
      - 2
      - 0
    .max_flat_workgroup_size: 1024
    .name:           _Z23build_expert_work_queuePKiPiP4Int2i
    .private_segment_fixed_size: 0
    .sgpr_count:     22
    .sgpr_spill_count: 0
    .symbol:         _Z23build_expert_work_queuePKiPiP4Int2i.kd
    .uniform_work_group_size: 1
    .uses_dynamic_stack: false
    .vgpr_count:     5
    .vgpr_spill_count: 0
    .wavefront_size: 64
  - .agpr_count:     0
    .args:
      - .actual_access:  read_only
        .address_space:  global
        .offset:         0
        .size:           8
        .value_kind:     global_buffer
      - .offset:         8
        .size:           4
        .value_kind:     by_value
      - .offset:         12
        .size:           4
        .value_kind:     by_value
      - .offset:         16
        .size:           4
        .value_kind:     by_value
      - .offset:         20
        .size:           4
        .value_kind:     by_value
      - .actual_access:  write_only
        .address_space:  global
        .offset:         24
        .size:           8
        .value_kind:     global_buffer
      - .actual_access:  write_only
        .address_space:  global
        .offset:         32
        .size:           8
        .value_kind:     global_buffer
      - .actual_access:  write_only
        .address_space:  global
        .offset:         40
        .size:           8
        .value_kind:     global_buffer
    .group_segment_fixed_size: 0
    .kernarg_segment_align: 8
    .kernarg_segment_size: 48
    .language:       OpenCL C
    .language_version:
      - 2
      - 0
    .max_flat_workgroup_size: 1024
    .name:           _Z25classify_and_build_queuesPKiiiffPiS1_P8MoEStats
    .private_segment_fixed_size: 0
    .sgpr_count:     32
    .sgpr_spill_count: 0
    .symbol:         _Z25classify_and_build_queuesPKiiiffPiS1_P8MoEStats.kd
    .uniform_work_group_size: 1
    .uses_dynamic_stack: false
    .vgpr_count:     7
    .vgpr_spill_count: 0
    .wavefront_size: 64
  - .agpr_count:     0
    .args:
      - .address_space:  global
        .offset:         0
        .size:           8
        .value_kind:     global_buffer
      - .offset:         8
        .size:           4
        .value_kind:     by_value
      - .offset:         12
        .size:           4
        .value_kind:     by_value
      - .offset:         16
        .size:           4
        .value_kind:     hidden_block_count_x
      - .offset:         20
        .size:           4
        .value_kind:     hidden_block_count_y
      - .offset:         24
        .size:           4
        .value_kind:     hidden_block_count_z
      - .offset:         28
        .size:           2
        .value_kind:     hidden_group_size_x
      - .offset:         30
        .size:           2
        .value_kind:     hidden_group_size_y
      - .offset:         32
        .size:           2
        .value_kind:     hidden_group_size_z
      - .offset:         34
        .size:           2
        .value_kind:     hidden_remainder_x
      - .offset:         36
        .size:           2
        .value_kind:     hidden_remainder_y
      - .offset:         38
        .size:           2
        .value_kind:     hidden_remainder_z
      - .offset:         56
        .size:           8
        .value_kind:     hidden_global_offset_x
      - .offset:         64
        .size:           8
        .value_kind:     hidden_global_offset_y
      - .offset:         72
        .size:           8
        .value_kind:     hidden_global_offset_z
      - .offset:         80
        .size:           2
        .value_kind:     hidden_grid_dims
    .group_segment_fixed_size: 136
    .kernarg_segment_align: 8
    .kernarg_segment_size: 272
    .language:       OpenCL C
    .language_version:
      - 2
      - 0
    .max_flat_workgroup_size: 1024
    .name:           _Z14softmax_kernelPfii
    .private_segment_fixed_size: 0
    .sgpr_count:     31
    .sgpr_spill_count: 0
    .symbol:         _Z14softmax_kernelPfii.kd
    .uniform_work_group_size: 1
    .uses_dynamic_stack: false
    .vgpr_count:     21
    .vgpr_spill_count: 0
    .wavefront_size: 64
  - .agpr_count:     0
    .args:
      - .address_space:  global
        .offset:         0
        .size:           8
        .value_kind:     global_buffer
      - .address_space:  global
        .offset:         8
        .size:           8
        .value_kind:     global_buffer
      - .address_space:  global
        .offset:         16
        .size:           8
        .value_kind:     global_buffer
      - .offset:         24
        .size:           4
        .value_kind:     by_value
      - .offset:         28
        .size:           4
        .value_kind:     by_value
      - .offset:         32
        .size:           4
        .value_kind:     by_value
    .group_segment_fixed_size: 8192
    .kernarg_segment_align: 8
    .kernarg_segment_size: 36
    .language:       OpenCL C
    .language_version:
      - 2
      - 0
    .max_flat_workgroup_size: 1024
    .name:           _Z11topk_kernelPfS_Piiii
    .private_segment_fixed_size: 0
    .sgpr_count:     34
    .sgpr_spill_count: 0
    .symbol:         _Z11topk_kernelPfS_Piiii.kd
    .uniform_work_group_size: 1
    .uses_dynamic_stack: false
    .vgpr_count:     12
    .vgpr_spill_count: 0
    .wavefront_size: 64
  - .agpr_count:     0
    .args:
      - .address_space:  global
        .offset:         0
        .size:           8
        .value_kind:     global_buffer
      - .address_space:  global
        .offset:         8
        .size:           8
        .value_kind:     global_buffer
      - .offset:         16
        .size:           4
        .value_kind:     by_value
      - .offset:         20
        .size:           4
        .value_kind:     by_value
      - .offset:         24
        .size:           4
        .value_kind:     by_value
      - .offset:         32
        .size:           4
        .value_kind:     hidden_block_count_x
      - .offset:         36
        .size:           4
        .value_kind:     hidden_block_count_y
      - .offset:         40
        .size:           4
        .value_kind:     hidden_block_count_z
      - .offset:         44
        .size:           2
        .value_kind:     hidden_group_size_x
      - .offset:         46
        .size:           2
        .value_kind:     hidden_group_size_y
      - .offset:         48
        .size:           2
        .value_kind:     hidden_group_size_z
      - .offset:         50
        .size:           2
        .value_kind:     hidden_remainder_x
      - .offset:         52
        .size:           2
        .value_kind:     hidden_remainder_y
      - .offset:         54
        .size:           2
        .value_kind:     hidden_remainder_z
      - .offset:         72
        .size:           8
        .value_kind:     hidden_global_offset_x
      - .offset:         80
        .size:           8
        .value_kind:     hidden_global_offset_y
      - .offset:         88
        .size:           8
        .value_kind:     hidden_global_offset_z
      - .offset:         96
        .size:           2
        .value_kind:     hidden_grid_dims
    .group_segment_fixed_size: 0
    .kernarg_segment_align: 8
    .kernarg_segment_size: 288
    .language:       OpenCL C
    .language_version:
      - 2
      - 0
    .max_flat_workgroup_size: 1024
    .name:           _Z13vecadd_kernelPfS_fii
    .private_segment_fixed_size: 0
    .sgpr_count:     18
    .sgpr_spill_count: 0
    .symbol:         _Z13vecadd_kernelPfS_fii.kd
    .uniform_work_group_size: 1
    .uses_dynamic_stack: false
    .vgpr_count:     4
    .vgpr_spill_count: 0
    .wavefront_size: 64
  - .agpr_count:     0
    .args:
      - .address_space:  global
        .offset:         0
        .size:           8
        .value_kind:     global_buffer
      - .address_space:  global
        .offset:         8
        .size:           8
        .value_kind:     global_buffer
      - .offset:         16
        .size:           4
        .value_kind:     by_value
      - .offset:         20
        .size:           4
        .value_kind:     by_value
      - .offset:         24
        .size:           4
        .value_kind:     by_value
      - .offset:         32
        .size:           4
        .value_kind:     hidden_block_count_x
      - .offset:         36
        .size:           4
        .value_kind:     hidden_block_count_y
      - .offset:         40
        .size:           4
        .value_kind:     hidden_block_count_z
      - .offset:         44
        .size:           2
        .value_kind:     hidden_group_size_x
      - .offset:         46
        .size:           2
        .value_kind:     hidden_group_size_y
      - .offset:         48
        .size:           2
        .value_kind:     hidden_group_size_z
      - .offset:         50
        .size:           2
        .value_kind:     hidden_remainder_x
      - .offset:         52
        .size:           2
        .value_kind:     hidden_remainder_y
      - .offset:         54
        .size:           2
        .value_kind:     hidden_remainder_z
      - .offset:         72
        .size:           8
        .value_kind:     hidden_global_offset_x
      - .offset:         80
        .size:           8
        .value_kind:     hidden_global_offset_y
      - .offset:         88
        .size:           8
        .value_kind:     hidden_global_offset_z
      - .offset:         96
        .size:           2
        .value_kind:     hidden_grid_dims
    .group_segment_fixed_size: 0
    .kernarg_segment_align: 8
    .kernarg_segment_size: 288
    .language:       OpenCL C
    .language_version:
      - 2
      - 0
    .max_flat_workgroup_size: 1024
    .name:           _Z22vecadd_and_zero_kernelPfS_fii
    .private_segment_fixed_size: 0
    .sgpr_count:     18
    .sgpr_spill_count: 0
    .symbol:         _Z22vecadd_and_zero_kernelPfS_fii.kd
    .uniform_work_group_size: 1
    .uses_dynamic_stack: false
    .vgpr_count:     7
    .vgpr_spill_count: 0
    .wavefront_size: 64
  - .agpr_count:     0
    .args:
      - .actual_access:  read_only
        .address_space:  global
        .offset:         0
        .size:           8
        .value_kind:     global_buffer
      - .actual_access:  read_only
        .address_space:  global
        .offset:         8
        .size:           8
        .value_kind:     global_buffer
      - .actual_access:  read_only
        .address_space:  global
        .offset:         16
        .size:           8
        .value_kind:     global_buffer
      - .actual_access:  read_only
        .address_space:  global
        .offset:         24
        .size:           8
        .value_kind:     global_buffer
      - .actual_access:  read_only
        .address_space:  global
        .offset:         32
        .size:           8
        .value_kind:     global_buffer
      - .actual_access:  write_only
        .address_space:  global
        .offset:         40
        .size:           8
        .value_kind:     global_buffer
      - .offset:         48
        .size:           4
        .value_kind:     by_value
      - .offset:         52
        .size:           4
        .value_kind:     by_value
      - .offset:         56
        .size:           4
        .value_kind:     by_value
      - .offset:         60
        .size:           4
        .value_kind:     by_value
      - .offset:         64
        .size:           4
        .value_kind:     by_value
      - .offset:         68
        .size:           4
        .value_kind:     by_value
      - .offset:         72
        .size:           4
        .value_kind:     by_value
      - .offset:         76
        .size:           4
        .value_kind:     by_value
      - .actual_access:  read_only
        .address_space:  global
        .offset:         80
        .size:           8
        .value_kind:     global_buffer
      - .actual_access:  read_only
        .address_space:  global
        .offset:         88
        .size:           8
        .value_kind:     global_buffer
      - .offset:         96
        .size:           8
        .value_kind:     by_value
      - .actual_access:  read_only
        .address_space:  global
        .offset:         104
        .size:           8
        .value_kind:     global_buffer
      - .actual_access:  read_only
        .address_space:  global
        .offset:         112
        .size:           8
        .value_kind:     global_buffer
      - .actual_access:  read_only
        .address_space:  global
        .offset:         120
        .size:           8
        .value_kind:     global_buffer
      - .offset:         128
        .size:           4
        .value_kind:     by_value
    .group_segment_fixed_size: 4992
    .kernarg_segment_align: 8
    .kernarg_segment_size: 132
    .language:       OpenCL C
    .language_version:
      - 2
      - 0
    .max_flat_workgroup_size: 1024
    .name:           _Z22fa2_decode_mfma_head64I14__hip_bfloat16Lb1ELi16ELi16EEvPKfPKvS4_S2_PKS0_PfiiiiiiiiPKiS9_xPKxS9_S9_i
    .private_segment_fixed_size: 0
    .sgpr_count:     82
    .sgpr_spill_count: 0
    .symbol:         _Z22fa2_decode_mfma_head64I14__hip_bfloat16Lb1ELi16ELi16EEvPKfPKvS4_S2_PKS0_PfiiiiiiiiPKiS9_xPKxS9_S9_i.kd
    .uniform_work_group_size: 1
    .uses_dynamic_stack: false
    .vgpr_count:     96
    .vgpr_spill_count: 0
    .wavefront_size: 64
  - .agpr_count:     0
    .args:
      - .actual_access:  read_only
        .address_space:  global
        .offset:         0
        .size:           8
        .value_kind:     global_buffer
      - .actual_access:  read_only
        .address_space:  global
        .offset:         8
        .size:           8
        .value_kind:     global_buffer
      - .actual_access:  read_only
        .address_space:  global
        .offset:         16
        .size:           8
        .value_kind:     global_buffer
      - .actual_access:  read_only
        .address_space:  global
        .offset:         24
        .size:           8
        .value_kind:     global_buffer
      - .actual_access:  read_only
        .address_space:  global
        .offset:         32
        .size:           8
        .value_kind:     global_buffer
      - .actual_access:  write_only
        .address_space:  global
        .offset:         40
        .size:           8
        .value_kind:     global_buffer
      - .offset:         48
        .size:           4
        .value_kind:     by_value
      - .offset:         52
        .size:           4
        .value_kind:     by_value
      - .offset:         56
        .size:           4
        .value_kind:     by_value
      - .offset:         60
        .size:           4
        .value_kind:     by_value
      - .offset:         64
        .size:           4
        .value_kind:     by_value
      - .offset:         68
        .size:           4
        .value_kind:     by_value
      - .offset:         72
        .size:           4
        .value_kind:     by_value
      - .offset:         76
        .size:           4
        .value_kind:     by_value
      - .actual_access:  read_only
        .address_space:  global
        .offset:         80
        .size:           8
        .value_kind:     global_buffer
      - .actual_access:  read_only
        .address_space:  global
        .offset:         88
        .size:           8
        .value_kind:     global_buffer
      - .offset:         96
        .size:           8
        .value_kind:     by_value
      - .actual_access:  read_only
        .address_space:  global
        .offset:         104
        .size:           8
        .value_kind:     global_buffer
      - .actual_access:  read_only
        .address_space:  global
        .offset:         112
        .size:           8
        .value_kind:     global_buffer
      - .actual_access:  read_only
        .address_space:  global
        .offset:         120
        .size:           8
        .value_kind:     global_buffer
      - .offset:         128
        .size:           4
        .value_kind:     by_value
    .group_segment_fixed_size: 4992
    .kernarg_segment_align: 8
    .kernarg_segment_size: 132
    .language:       OpenCL C
    .language_version:
      - 2
      - 0
    .max_flat_workgroup_size: 1024
    .name:           _Z22fa2_decode_mfma_head64I14__hip_bfloat16Lb0ELi16ELi16EEvPKfPKvS4_S2_PKS0_PfiiiiiiiiPKiS9_xPKxS9_S9_i
    .private_segment_fixed_size: 0
    .sgpr_count:     83
    .sgpr_spill_count: 0
    .symbol:         _Z22fa2_decode_mfma_head64I14__hip_bfloat16Lb0ELi16ELi16EEvPKfPKvS4_S2_PKS0_PfiiiiiiiiPKiS9_xPKxS9_S9_i.kd
    .uniform_work_group_size: 1
    .uses_dynamic_stack: false
    .vgpr_count:     94
    .vgpr_spill_count: 0
    .wavefront_size: 64
  - .agpr_count:     0
    .args:
      - .actual_access:  read_only
        .address_space:  global
        .offset:         0
        .size:           8
        .value_kind:     global_buffer
      - .actual_access:  read_only
        .address_space:  global
        .offset:         8
        .size:           8
        .value_kind:     global_buffer
      - .actual_access:  read_only
        .address_space:  global
        .offset:         16
        .size:           8
        .value_kind:     global_buffer
      - .actual_access:  read_only
        .address_space:  global
        .offset:         24
        .size:           8
        .value_kind:     global_buffer
      - .actual_access:  read_only
        .address_space:  global
        .offset:         32
        .size:           8
        .value_kind:     global_buffer
      - .actual_access:  write_only
        .address_space:  global
        .offset:         40
        .size:           8
        .value_kind:     global_buffer
      - .offset:         48
        .size:           4
        .value_kind:     by_value
      - .offset:         52
        .size:           4
        .value_kind:     by_value
      - .offset:         56
        .size:           4
        .value_kind:     by_value
      - .offset:         60
        .size:           4
        .value_kind:     by_value
      - .offset:         64
        .size:           4
        .value_kind:     by_value
      - .offset:         68
        .size:           4
        .value_kind:     by_value
      - .offset:         72
        .size:           4
        .value_kind:     by_value
      - .offset:         76
        .size:           4
        .value_kind:     by_value
      - .actual_access:  read_only
        .address_space:  global
        .offset:         80
        .size:           8
        .value_kind:     global_buffer
      - .actual_access:  read_only
        .address_space:  global
        .offset:         88
        .size:           8
        .value_kind:     global_buffer
      - .offset:         96
        .size:           8
        .value_kind:     by_value
      - .actual_access:  read_only
        .address_space:  global
        .offset:         104
        .size:           8
        .value_kind:     global_buffer
      - .actual_access:  read_only
        .address_space:  global
        .offset:         112
        .size:           8
        .value_kind:     global_buffer
      - .actual_access:  read_only
        .address_space:  global
        .offset:         120
        .size:           8
        .value_kind:     global_buffer
      - .offset:         128
        .size:           4
        .value_kind:     by_value
    .group_segment_fixed_size: 4992
    .kernarg_segment_align: 8
    .kernarg_segment_size: 132
    .language:       OpenCL C
    .language_version:
      - 2
      - 0
    .max_flat_workgroup_size: 1024
    .name:           _Z22fa2_decode_mfma_head64IfLb1ELi16ELi16EEvPKfPKvS3_S1_PK14__hip_bfloat16PfiiiiiiiiPKiS9_xPKxS9_S9_i
    .private_segment_fixed_size: 0
    .sgpr_count:     82
    .sgpr_spill_count: 0
    .symbol:         _Z22fa2_decode_mfma_head64IfLb1ELi16ELi16EEvPKfPKvS3_S1_PK14__hip_bfloat16PfiiiiiiiiPKiS9_xPKxS9_S9_i.kd
    .uniform_work_group_size: 1
    .uses_dynamic_stack: false
    .vgpr_count:     96
    .vgpr_spill_count: 0
    .wavefront_size: 64
  - .agpr_count:     0
    .args:
      - .actual_access:  read_only
        .address_space:  global
        .offset:         0
        .size:           8
        .value_kind:     global_buffer
      - .actual_access:  read_only
        .address_space:  global
        .offset:         8
        .size:           8
        .value_kind:     global_buffer
      - .actual_access:  read_only
        .address_space:  global
        .offset:         16
        .size:           8
        .value_kind:     global_buffer
      - .actual_access:  read_only
        .address_space:  global
        .offset:         24
        .size:           8
        .value_kind:     global_buffer
      - .actual_access:  read_only
        .address_space:  global
        .offset:         32
        .size:           8
        .value_kind:     global_buffer
      - .actual_access:  write_only
        .address_space:  global
        .offset:         40
        .size:           8
        .value_kind:     global_buffer
      - .offset:         48
        .size:           4
        .value_kind:     by_value
      - .offset:         52
        .size:           4
        .value_kind:     by_value
      - .offset:         56
        .size:           4
        .value_kind:     by_value
      - .offset:         60
        .size:           4
        .value_kind:     by_value
      - .offset:         64
        .size:           4
        .value_kind:     by_value
      - .offset:         68
        .size:           4
        .value_kind:     by_value
      - .offset:         72
        .size:           4
        .value_kind:     by_value
      - .offset:         76
        .size:           4
        .value_kind:     by_value
      - .actual_access:  read_only
        .address_space:  global
        .offset:         80
        .size:           8
        .value_kind:     global_buffer
      - .actual_access:  read_only
        .address_space:  global
        .offset:         88
        .size:           8
        .value_kind:     global_buffer
      - .offset:         96
        .size:           8
        .value_kind:     by_value
      - .actual_access:  read_only
        .address_space:  global
        .offset:         104
        .size:           8
        .value_kind:     global_buffer
      - .actual_access:  read_only
        .address_space:  global
        .offset:         112
        .size:           8
        .value_kind:     global_buffer
      - .actual_access:  read_only
        .address_space:  global
        .offset:         120
        .size:           8
        .value_kind:     global_buffer
      - .offset:         128
        .size:           4
        .value_kind:     by_value
    .group_segment_fixed_size: 4992
    .kernarg_segment_align: 8
    .kernarg_segment_size: 132
    .language:       OpenCL C
    .language_version:
      - 2
      - 0
    .max_flat_workgroup_size: 1024
    .name:           _Z22fa2_decode_mfma_head64IfLb0ELi16ELi16EEvPKfPKvS3_S1_PK14__hip_bfloat16PfiiiiiiiiPKiS9_xPKxS9_S9_i
    .private_segment_fixed_size: 0
    .sgpr_count:     83
    .sgpr_spill_count: 0
    .symbol:         _Z22fa2_decode_mfma_head64IfLb0ELi16ELi16EEvPKfPKvS3_S1_PK14__hip_bfloat16PfiiiiiiiiPKiS9_xPKxS9_S9_i.kd
    .uniform_work_group_size: 1
    .uses_dynamic_stack: false
    .vgpr_count:     94
    .vgpr_spill_count: 0
    .wavefront_size: 64
  - .agpr_count:     0
    .args:
      - .actual_access:  read_only
        .address_space:  global
        .offset:         0
        .size:           8
        .value_kind:     global_buffer
      - .actual_access:  read_only
        .address_space:  global
        .offset:         8
        .size:           8
        .value_kind:     global_buffer
      - .actual_access:  write_only
        .address_space:  global
        .offset:         16
        .size:           8
        .value_kind:     global_buffer
      - .offset:         24
        .size:           4
        .value_kind:     by_value
      - .offset:         28
        .size:           4
        .value_kind:     by_value
      - .offset:         32
        .size:           4
        .value_kind:     hidden_block_count_x
      - .offset:         36
        .size:           4
        .value_kind:     hidden_block_count_y
      - .offset:         40
        .size:           4
        .value_kind:     hidden_block_count_z
      - .offset:         44
        .size:           2
        .value_kind:     hidden_group_size_x
      - .offset:         46
        .size:           2
        .value_kind:     hidden_group_size_y
      - .offset:         48
        .size:           2
        .value_kind:     hidden_group_size_z
      - .offset:         50
        .size:           2
        .value_kind:     hidden_remainder_x
      - .offset:         52
        .size:           2
        .value_kind:     hidden_remainder_y
      - .offset:         54
        .size:           2
        .value_kind:     hidden_remainder_z
      - .offset:         72
        .size:           8
        .value_kind:     hidden_global_offset_x
      - .offset:         80
        .size:           8
        .value_kind:     hidden_global_offset_y
      - .offset:         88
        .size:           8
        .value_kind:     hidden_global_offset_z
      - .offset:         96
        .size:           2
        .value_kind:     hidden_grid_dims
    .group_segment_fixed_size: 0
    .kernarg_segment_align: 8
    .kernarg_segment_size: 288
    .language:       OpenCL C
    .language_version:
      - 2
      - 0
    .max_flat_workgroup_size: 256
    .name:           _Z16embed_kernel_vecILi8EEvPK14__hip_bfloat16PKiPfii
    .private_segment_fixed_size: 0
    .sgpr_count:     44
    .sgpr_spill_count: 0
    .symbol:         _Z16embed_kernel_vecILi8EEvPK14__hip_bfloat16PKiPfii.kd
    .uniform_work_group_size: 1
    .uses_dynamic_stack: false
    .vgpr_count:     46
    .vgpr_spill_count: 0
    .wavefront_size: 64
  - .agpr_count:     0
    .args:
      - .actual_access:  read_only
        .address_space:  global
        .offset:         0
        .size:           8
        .value_kind:     global_buffer
      - .actual_access:  read_only
        .address_space:  global
        .offset:         8
        .size:           8
        .value_kind:     global_buffer
      - .actual_access:  write_only
        .address_space:  global
        .offset:         16
        .size:           8
        .value_kind:     global_buffer
      - .offset:         24
        .size:           4
        .value_kind:     by_value
      - .offset:         28
        .size:           4
        .value_kind:     by_value
      - .offset:         32
        .size:           4
        .value_kind:     hidden_block_count_x
      - .offset:         36
        .size:           4
        .value_kind:     hidden_block_count_y
      - .offset:         40
        .size:           4
        .value_kind:     hidden_block_count_z
      - .offset:         44
        .size:           2
        .value_kind:     hidden_group_size_x
      - .offset:         46
        .size:           2
        .value_kind:     hidden_group_size_y
      - .offset:         48
        .size:           2
        .value_kind:     hidden_group_size_z
      - .offset:         50
        .size:           2
        .value_kind:     hidden_remainder_x
      - .offset:         52
        .size:           2
        .value_kind:     hidden_remainder_y
      - .offset:         54
        .size:           2
        .value_kind:     hidden_remainder_z
      - .offset:         72
        .size:           8
        .value_kind:     hidden_global_offset_x
      - .offset:         80
        .size:           8
        .value_kind:     hidden_global_offset_y
      - .offset:         88
        .size:           8
        .value_kind:     hidden_global_offset_z
      - .offset:         96
        .size:           2
        .value_kind:     hidden_grid_dims
    .group_segment_fixed_size: 0
    .kernarg_segment_align: 8
    .kernarg_segment_size: 288
    .language:       OpenCL C
    .language_version:
      - 2
      - 0
    .max_flat_workgroup_size: 256
    .name:           _Z16embed_kernel_vecILi2EEvPK14__hip_bfloat16PKiPfii
    .private_segment_fixed_size: 0
    .sgpr_count:     18
    .sgpr_spill_count: 0
    .symbol:         _Z16embed_kernel_vecILi2EEvPK14__hip_bfloat16PKiPfii.kd
    .uniform_work_group_size: 1
    .uses_dynamic_stack: false
    .vgpr_count:     8
    .vgpr_spill_count: 0
    .wavefront_size: 64
  - .agpr_count:     0
    .args:
      - .actual_access:  read_only
        .address_space:  global
        .offset:         0
        .size:           8
        .value_kind:     global_buffer
      - .actual_access:  write_only
        .address_space:  global
        .offset:         8
        .size:           8
        .value_kind:     global_buffer
      - .actual_access:  write_only
        .address_space:  global
        .offset:         16
        .size:           8
        .value_kind:     global_buffer
      - .actual_access:  write_only
        .address_space:  global
        .offset:         24
        .size:           8
        .value_kind:     global_buffer
      - .offset:         32
        .size:           4
        .value_kind:     by_value
      - .offset:         36
        .size:           4
        .value_kind:     by_value
      - .offset:         40
        .size:           4
        .value_kind:     by_value
      - .offset:         44
        .size:           4
        .value_kind:     by_value
      - .offset:         48
        .size:           4
        .value_kind:     by_value
      - .actual_access:  read_only
        .address_space:  global
        .offset:         56
        .size:           8
        .value_kind:     global_buffer
      - .offset:         64
        .size:           4
        .value_kind:     by_value
      - .actual_access:  read_only
        .address_space:  global
        .offset:         72
        .size:           8
        .value_kind:     global_buffer
      - .offset:         80
        .size:           8
        .value_kind:     by_value
      - .offset:         88
        .size:           4
        .value_kind:     by_value
      - .offset:         92
        .size:           4
        .value_kind:     by_value
      - .actual_access:  read_only
        .address_space:  global
        .offset:         96
        .size:           8
        .value_kind:     global_buffer
      - .actual_access:  read_only
        .address_space:  global
        .offset:         104
        .size:           8
        .value_kind:     global_buffer
      - .actual_access:  read_only
        .address_space:  global
        .offset:         112
        .size:           8
        .value_kind:     global_buffer
      - .offset:         120
        .size:           4
        .value_kind:     hidden_block_count_x
      - .offset:         124
        .size:           4
        .value_kind:     hidden_block_count_y
      - .offset:         128
        .size:           4
        .value_kind:     hidden_block_count_z
      - .offset:         132
        .size:           2
        .value_kind:     hidden_group_size_x
      - .offset:         134
        .size:           2
        .value_kind:     hidden_group_size_y
      - .offset:         136
        .size:           2
        .value_kind:     hidden_group_size_z
      - .offset:         138
        .size:           2
        .value_kind:     hidden_remainder_x
      - .offset:         140
        .size:           2
        .value_kind:     hidden_remainder_y
      - .offset:         142
        .size:           2
        .value_kind:     hidden_remainder_z
      - .offset:         160
        .size:           8
        .value_kind:     hidden_global_offset_x
      - .offset:         168
        .size:           8
        .value_kind:     hidden_global_offset_y
      - .offset:         176
        .size:           8
        .value_kind:     hidden_global_offset_z
      - .offset:         184
        .size:           2
        .value_kind:     hidden_grid_dims
    .group_segment_fixed_size: 0
    .kernarg_segment_align: 8
    .kernarg_segment_size: 376
    .language:       OpenCL C
    .language_version:
      - 2
      - 0
    .max_flat_workgroup_size: 1024
    .name:           _Z16split_qkv_kernelILi4EEvPKfPfPvS3_iiiiiPKiiS5_xiiPKxS5_S5_
    .private_segment_fixed_size: 0
    .sgpr_count:     32
    .sgpr_spill_count: 0
    .symbol:         _Z16split_qkv_kernelILi4EEvPKfPfPvS3_iiiiiPKiiS5_xiiPKxS5_S5_.kd
    .uniform_work_group_size: 1
    .uses_dynamic_stack: false
    .vgpr_count:     11
    .vgpr_spill_count: 0
    .wavefront_size: 64
  - .agpr_count:     0
    .args:
      - .actual_access:  read_only
        .address_space:  global
        .offset:         0
        .size:           8
        .value_kind:     global_buffer
      - .actual_access:  write_only
        .address_space:  global
        .offset:         8
        .size:           8
        .value_kind:     global_buffer
      - .actual_access:  write_only
        .address_space:  global
        .offset:         16
        .size:           8
        .value_kind:     global_buffer
      - .actual_access:  write_only
        .address_space:  global
        .offset:         24
        .size:           8
        .value_kind:     global_buffer
      - .offset:         32
        .size:           4
        .value_kind:     by_value
      - .offset:         36
        .size:           4
        .value_kind:     by_value
      - .offset:         40
        .size:           4
        .value_kind:     by_value
      - .offset:         44
        .size:           4
        .value_kind:     by_value
      - .offset:         48
        .size:           4
        .value_kind:     by_value
      - .actual_access:  read_only
        .address_space:  global
        .offset:         56
        .size:           8
        .value_kind:     global_buffer
      - .offset:         64
        .size:           4
        .value_kind:     by_value
      - .actual_access:  read_only
        .address_space:  global
        .offset:         72
        .size:           8
        .value_kind:     global_buffer
      - .offset:         80
        .size:           8
        .value_kind:     by_value
      - .offset:         88
        .size:           4
        .value_kind:     by_value
      - .offset:         92
        .size:           4
        .value_kind:     by_value
      - .actual_access:  read_only
        .address_space:  global
        .offset:         96
        .size:           8
        .value_kind:     global_buffer
      - .actual_access:  read_only
        .address_space:  global
        .offset:         104
        .size:           8
        .value_kind:     global_buffer
      - .actual_access:  read_only
        .address_space:  global
        .offset:         112
        .size:           8
        .value_kind:     global_buffer
      - .offset:         120
        .size:           4
        .value_kind:     hidden_block_count_x
      - .offset:         124
        .size:           4
        .value_kind:     hidden_block_count_y
      - .offset:         128
        .size:           4
        .value_kind:     hidden_block_count_z
      - .offset:         132
        .size:           2
        .value_kind:     hidden_group_size_x
      - .offset:         134
        .size:           2
        .value_kind:     hidden_group_size_y
      - .offset:         136
        .size:           2
        .value_kind:     hidden_group_size_z
      - .offset:         138
        .size:           2
        .value_kind:     hidden_remainder_x
      - .offset:         140
        .size:           2
        .value_kind:     hidden_remainder_y
      - .offset:         142
        .size:           2
        .value_kind:     hidden_remainder_z
      - .offset:         160
        .size:           8
        .value_kind:     hidden_global_offset_x
      - .offset:         168
        .size:           8
        .value_kind:     hidden_global_offset_y
      - .offset:         176
        .size:           8
        .value_kind:     hidden_global_offset_z
      - .offset:         184
        .size:           2
        .value_kind:     hidden_grid_dims
    .group_segment_fixed_size: 0
    .kernarg_segment_align: 8
    .kernarg_segment_size: 376
    .language:       OpenCL C
    .language_version:
      - 2
      - 0
    .max_flat_workgroup_size: 1024
    .name:           _Z16split_qkv_kernelILi1EEvPKfPfPvS3_iiiiiPKiiS5_xiiPKxS5_S5_
    .private_segment_fixed_size: 0
    .sgpr_count:     32
    .sgpr_spill_count: 0
    .symbol:         _Z16split_qkv_kernelILi1EEvPKfPfPvS3_iiiiiPKiiS5_xiiPKxS5_S5_.kd
    .uniform_work_group_size: 1
    .uses_dynamic_stack: false
    .vgpr_count:     11
    .vgpr_spill_count: 0
    .wavefront_size: 64
amdhsa.target:   amdgcn-amd-amdhsa--gfx950
amdhsa.version:
  - 1
  - 2
...

	.end_amdgpu_metadata
